;; amdgpu-corpus repo=ROCm/rocFFT kind=compiled arch=gfx1030 opt=O3
	.text
	.amdgcn_target "amdgcn-amd-amdhsa--gfx1030"
	.amdhsa_code_object_version 6
	.protected	bluestein_single_fwd_len1020_dim1_dp_op_CI_CI ; -- Begin function bluestein_single_fwd_len1020_dim1_dp_op_CI_CI
	.globl	bluestein_single_fwd_len1020_dim1_dp_op_CI_CI
	.p2align	8
	.type	bluestein_single_fwd_len1020_dim1_dp_op_CI_CI,@function
bluestein_single_fwd_len1020_dim1_dp_op_CI_CI: ; @bluestein_single_fwd_len1020_dim1_dp_op_CI_CI
; %bb.0:
	s_load_dwordx4 s[8:11], s[4:5], 0x28
	v_mul_u32_u24_e32 v1, 0x3c4, v0
	s_mov_b64 s[62:63], s[2:3]
	s_mov_b64 s[60:61], s[0:1]
	s_mov_b32 s0, exec_lo
	s_add_u32 s60, s60, s7
	v_lshrrev_b32_e32 v1, 16, v1
	s_addc_u32 s61, s61, 0
	v_mad_u64_u32 v[69:70], null, s6, 3, v[1:2]
	v_mov_b32_e32 v70, 0
	s_waitcnt lgkmcnt(0)
	v_cmpx_gt_u64_e64 s[8:9], v[69:70]
	s_cbranch_execz .LBB0_31
; %bb.1:
	s_clause 0x1
	s_load_dwordx4 s[0:3], s[4:5], 0x18
	s_load_dwordx2 s[6:7], s[4:5], 0x0
	v_mul_lo_u16 v1, 0x44, v1
	v_mul_hi_u32 v60, 0xaaaaaaab, v69
	v_mov_b32_e32 v72, v69
	v_sub_nc_u16 v2, v0, v1
	v_lshrrev_b32_e32 v64, 1, v60
	v_and_b32_e32 v246, 0xffff, v2
	v_lshl_add_u32 v68, v64, 1, v64
	v_lshlrev_b32_e32 v3, 4, v246
	s_waitcnt lgkmcnt(0)
	s_load_dwordx4 s[12:15], s[0:1], 0x0
	s_clause 0x1
	global_load_dwordx4 v[82:85], v3, s[6:7]
	global_load_dwordx4 v[86:89], v3, s[6:7] offset:1088
	v_add_co_u32 v70, s0, s6, v3
	v_add_co_ci_u32_e64 v71, null, s7, 0, s0
	v_sub_nc_u32_e32 v74, v69, v68
	v_add_co_u32 v56, vcc_lo, 0x1800, v70
	v_add_co_ci_u32_e32 v57, vcc_lo, 0, v71, vcc_lo
	v_add_co_u32 v0, vcc_lo, 0x2000, v70
	v_add_co_ci_u32_e32 v1, vcc_lo, 0, v71, vcc_lo
	;; [unrolled: 2-line block ×3, first 2 shown]
	s_waitcnt lgkmcnt(0)
	v_mad_u64_u32 v[4:5], null, s14, v69, 0
	v_mad_u64_u32 v[8:9], null, s12, v246, 0
	v_add_co_u32 v10, vcc_lo, 0x2800, v70
	v_add_co_ci_u32_e32 v11, vcc_lo, 0, v71, vcc_lo
	v_mad_u64_u32 v[14:15], null, s15, v69, v[5:6]
	v_mad_u64_u32 v[15:16], null, s13, v246, v[9:10]
	v_add_co_u32 v12, vcc_lo, 0x1000, v70
	s_clause 0x1
	global_load_dwordx4 v[90:93], v[56:57], off offset:2016
	global_load_dwordx4 v[134:137], v[0:1], off offset:1056
	v_mov_b32_e32 v5, v14
	v_add_co_ci_u32_e32 v13, vcc_lo, 0, v71, vcc_lo
	v_mov_b32_e32 v9, v15
	v_add_co_u32 v52, vcc_lo, 0x3000, v70
	v_lshlrev_b64 v[0:1], 4, v[4:5]
	v_add_co_ci_u32_e32 v53, vcc_lo, 0, v71, vcc_lo
	v_lshlrev_b64 v[4:5], 4, v[8:9]
	s_mul_i32 s1, s13, 0x1fe
	s_mul_hi_u32 s7, s12, 0x1fe
	v_add_co_u32 v0, vcc_lo, s10, v0
	v_add_co_ci_u32_e32 v1, vcc_lo, s11, v1, vcc_lo
	s_mul_i32 s0, s12, 0x1fe
	v_add_co_u32 v0, vcc_lo, v0, v4
	s_mul_hi_u32 s9, s12, 0xfffffe46
	s_add_i32 s1, s7, s1
	v_add_co_ci_u32_e32 v1, vcc_lo, v1, v5, vcc_lo
	s_mul_i32 s8, s13, 0xfffffe46
	s_mul_i32 s6, s12, 0xfffffe46
	s_sub_i32 s7, s9, s12
	s_lshl_b64 s[12:13], s[0:1], 4
	s_add_i32 s7, s7, s8
	v_add_co_u32 v8, vcc_lo, v0, s12
	v_add_co_ci_u32_e32 v9, vcc_lo, s13, v1, vcc_lo
	s_lshl_b64 s[0:1], s[6:7], 4
	s_clause 0x1
	global_load_dwordx4 v[130:133], v[6:7], off offset:128
	global_load_dwordx4 v[122:125], v[6:7], off offset:1216
	v_add_co_u32 v14, vcc_lo, v8, s0
	v_add_co_ci_u32_e32 v15, vcc_lo, s1, v9, vcc_lo
	s_clause 0x1
	global_load_dwordx4 v[126:129], v[10:11], off offset:96
	global_load_dwordx4 v[114:117], v[10:11], off offset:1184
	v_add_co_u32 v16, vcc_lo, v14, s12
	v_add_co_ci_u32_e32 v17, vcc_lo, s13, v15, vcc_lo
	global_load_dwordx4 v[106:109], v[52:53], off offset:224
	v_add_co_u32 v20, vcc_lo, v16, s0
	v_add_co_ci_u32_e32 v21, vcc_lo, s1, v17, vcc_lo
	s_clause 0x1
	global_load_dwordx4 v[110:113], v[12:13], off offset:256
	global_load_dwordx4 v[118:121], v[12:13], off offset:1344
	v_add_co_u32 v24, vcc_lo, v20, s12
	v_add_co_ci_u32_e32 v25, vcc_lo, s13, v21, vcc_lo
	s_clause 0x1
	global_load_dwordx4 v[4:7], v[0:1], off
	global_load_dwordx4 v[8:11], v[8:9], off
	v_add_co_u32 v28, vcc_lo, v24, s0
	v_add_co_ci_u32_e32 v29, vcc_lo, s1, v25, vcc_lo
	s_clause 0x1
	global_load_dwordx4 v[12:15], v[14:15], off
	global_load_dwordx4 v[16:19], v[16:17], off
	v_add_co_u32 v0, vcc_lo, v28, s12
	v_add_co_ci_u32_e32 v1, vcc_lo, s13, v29, vcc_lo
	global_load_dwordx4 v[20:23], v[20:21], off
	v_add_co_u32 v36, vcc_lo, v0, s0
	v_add_co_ci_u32_e32 v37, vcc_lo, s1, v1, vcc_lo
	;; [unrolled: 3-line block ×4, first 2 shown]
	v_mul_u32_u24_e32 v74, 0x3fc, v74
	v_add_co_u32 v54, vcc_lo, v44, s12
	v_add_co_ci_u32_e32 v55, vcc_lo, s13, v45, vcc_lo
	global_load_dwordx4 v[32:35], v[0:1], off
	global_load_dwordx4 v[36:39], v[36:37], off
	;; [unrolled: 1-line block ×5, first 2 shown]
	v_add_co_u32 v54, vcc_lo, v54, s0
	v_add_co_ci_u32_e32 v55, vcc_lo, s1, v55, vcc_lo
	v_add_co_u32 v58, vcc_lo, 0x3800, v70
	v_add_co_ci_u32_e32 v59, vcc_lo, 0, v71, vcc_lo
	;; [unrolled: 2-line block ×3, first 2 shown]
	global_load_dwordx4 v[138:141], v[52:53], off offset:1312
	global_load_dwordx4 v[52:55], v[54:55], off
	buffer_store_dword v56, off, s[60:63], 0 offset:24 ; 4-byte Folded Spill
	buffer_store_dword v57, off, s[60:63], 0 offset:28 ; 4-byte Folded Spill
	v_lshlrev_b32_e32 v247, 4, v74
	v_cmp_gt_u16_e32 vcc_lo, 34, v2
	s_waitcnt vmcnt(13)
	v_mul_f64 v[60:61], v[6:7], v[84:85]
	s_waitcnt vmcnt(12)
	v_mul_f64 v[64:65], v[10:11], v[92:93]
	v_mul_f64 v[62:63], v[4:5], v[84:85]
	;; [unrolled: 1-line block ×3, first 2 shown]
	s_waitcnt vmcnt(11)
	v_mul_f64 v[68:69], v[14:15], v[88:89]
	s_waitcnt vmcnt(10)
	v_mul_f64 v[74:75], v[18:19], v[136:137]
	v_mul_f64 v[76:77], v[16:17], v[136:137]
	s_waitcnt vmcnt(9)
	v_mul_f64 v[78:79], v[22:23], v[132:133]
	v_mul_f64 v[80:81], v[20:21], v[132:133]
	v_fma_f64 v[4:5], v[4:5], v[82:83], v[60:61]
	v_fma_f64 v[8:9], v[8:9], v[90:91], v[64:65]
	s_waitcnt vmcnt(8)
	v_mul_f64 v[60:61], v[26:27], v[128:129]
	s_waitcnt vmcnt(7)
	v_mul_f64 v[64:65], v[30:31], v[124:125]
	v_fma_f64 v[16:17], v[16:17], v[134:135], v[74:75]
	v_fma_f64 v[20:21], v[20:21], v[130:131], v[78:79]
	s_waitcnt vmcnt(1)
	v_mul_f64 v[94:95], v[50:51], v[140:141]
	global_load_dwordx4 v[142:145], v[56:57], off offset:384
	buffer_store_dword v58, off, s[60:63], 0 offset:4 ; 4-byte Folded Spill
	buffer_store_dword v59, off, s[60:63], 0 offset:8 ; 4-byte Folded Spill
	v_mul_f64 v[96:97], v[48:49], v[140:141]
	global_load_dwordx4 v[146:149], v[58:59], off offset:352
	global_load_dwordx4 v[56:59], v[0:1], off
	buffer_store_dword v72, off, s[60:63], 0 offset:32 ; 4-byte Folded Spill
	buffer_store_dword v73, off, s[60:63], 0 offset:36 ; 4-byte Folded Spill
	v_mul_f64 v[72:73], v[12:13], v[88:89]
	buffer_store_dword v82, off, s[60:63], 0 offset:40 ; 4-byte Folded Spill
	buffer_store_dword v83, off, s[60:63], 0 offset:44 ; 4-byte Folded Spill
	;; [unrolled: 1-line block ×8, first 2 shown]
	v_fma_f64 v[12:13], v[12:13], v[86:87], v[68:69]
	buffer_store_dword v86, off, s[60:63], 0 offset:56 ; 4-byte Folded Spill
	buffer_store_dword v87, off, s[60:63], 0 offset:60 ; 4-byte Folded Spill
	;; [unrolled: 1-line block ×4, first 2 shown]
	v_mul_f64 v[68:69], v[34:35], v[116:117]
	s_waitcnt vmcnt(2)
	v_mul_f64 v[98:99], v[54:55], v[144:145]
	v_mul_f64 v[84:85], v[36:37], v[112:113]
	;; [unrolled: 1-line block ×4, first 2 shown]
	buffer_store_dword v134, off, s[60:63], 0 offset:184 ; 4-byte Folded Spill
	buffer_store_dword v135, off, s[60:63], 0 offset:188 ; 4-byte Folded Spill
	;; [unrolled: 1-line block ×8, first 2 shown]
	v_fma_f64 v[48:49], v[48:49], v[138:139], v[94:95]
	v_mul_f64 v[100:101], v[52:53], v[144:145]
	v_fma_f64 v[52:53], v[52:53], v[142:143], v[98:99]
	v_fma_f64 v[6:7], v[6:7], v[82:83], -v[62:63]
	v_fma_f64 v[10:11], v[10:11], v[90:91], -v[66:67]
	v_mul_f64 v[82:83], v[38:39], v[112:113]
	v_fma_f64 v[14:15], v[14:15], v[86:87], -v[72:73]
	v_mul_f64 v[86:87], v[42:43], v[108:109]
	v_mul_f64 v[90:91], v[46:47], v[120:121]
	s_waitcnt vmcnt(0)
	v_mul_f64 v[102:103], v[58:59], v[148:149]
	v_mul_f64 v[62:63], v[24:25], v[128:129]
	v_mul_f64 v[66:67], v[28:29], v[124:125]
	v_mul_f64 v[72:73], v[32:33], v[116:117]
	v_fma_f64 v[24:25], v[24:25], v[126:127], v[60:61]
	buffer_store_dword v126, off, s[60:63], 0 offset:152 ; 4-byte Folded Spill
	buffer_store_dword v127, off, s[60:63], 0 offset:156 ; 4-byte Folded Spill
	buffer_store_dword v128, off, s[60:63], 0 offset:160 ; 4-byte Folded Spill
	buffer_store_dword v129, off, s[60:63], 0 offset:164 ; 4-byte Folded Spill
	v_fma_f64 v[28:29], v[28:29], v[122:123], v[64:65]
	buffer_store_dword v122, off, s[60:63], 0 offset:136 ; 4-byte Folded Spill
	buffer_store_dword v123, off, s[60:63], 0 offset:140 ; 4-byte Folded Spill
	buffer_store_dword v124, off, s[60:63], 0 offset:144 ; 4-byte Folded Spill
	buffer_store_dword v125, off, s[60:63], 0 offset:148 ; 4-byte Folded Spill
	;; [unrolled: 5-line block ×3, first 2 shown]
	v_mul_f64 v[104:105], v[56:57], v[148:149]
	v_fma_f64 v[18:19], v[18:19], v[134:135], -v[76:77]
	v_fma_f64 v[22:23], v[22:23], v[130:131], -v[80:81]
	v_add_nc_u32_e32 v68, v3, v247
	v_fma_f64 v[36:37], v[36:37], v[110:111], v[82:83]
	buffer_store_dword v110, off, s[60:63], 0 offset:88 ; 4-byte Folded Spill
	buffer_store_dword v111, off, s[60:63], 0 offset:92 ; 4-byte Folded Spill
	buffer_store_dword v112, off, s[60:63], 0 offset:96 ; 4-byte Folded Spill
	buffer_store_dword v113, off, s[60:63], 0 offset:100 ; 4-byte Folded Spill
	v_fma_f64 v[40:41], v[40:41], v[106:107], v[86:87]
	buffer_store_dword v106, off, s[60:63], 0 offset:72 ; 4-byte Folded Spill
	buffer_store_dword v107, off, s[60:63], 0 offset:76 ; 4-byte Folded Spill
	buffer_store_dword v108, off, s[60:63], 0 offset:80 ; 4-byte Folded Spill
	buffer_store_dword v109, off, s[60:63], 0 offset:84 ; 4-byte Folded Spill
	;; [unrolled: 5-line block ×3, first 2 shown]
	buffer_store_dword v138, off, s[60:63], 0 offset:216 ; 4-byte Folded Spill
	buffer_store_dword v139, off, s[60:63], 0 offset:220 ; 4-byte Folded Spill
	;; [unrolled: 1-line block ×8, first 2 shown]
	v_fma_f64 v[56:57], v[56:57], v[146:147], v[102:103]
	buffer_store_dword v146, off, s[60:63], 0 offset:248 ; 4-byte Folded Spill
	buffer_store_dword v147, off, s[60:63], 0 offset:252 ; 4-byte Folded Spill
	;; [unrolled: 1-line block ×4, first 2 shown]
	s_load_dwordx2 s[6:7], s[4:5], 0x38
	s_load_dwordx4 s[8:11], s[2:3], 0x0
	v_fma_f64 v[26:27], v[26:27], v[126:127], -v[62:63]
	v_fma_f64 v[30:31], v[30:31], v[122:123], -v[66:67]
	v_fma_f64 v[34:35], v[34:35], v[114:115], -v[72:73]
	v_fma_f64 v[38:39], v[38:39], v[110:111], -v[84:85]
	v_fma_f64 v[42:43], v[42:43], v[106:107], -v[88:89]
	ds_write_b128 v68, v[4:7]
	ds_write_b128 v68, v[8:11] offset:8160
	ds_write_b128 v68, v[12:15] offset:1088
	;; [unrolled: 1-line block ×9, first 2 shown]
	v_fma_f64 v[46:47], v[46:47], v[118:119], -v[92:93]
	v_fma_f64 v[50:51], v[50:51], v[138:139], -v[96:97]
	;; [unrolled: 1-line block ×4, first 2 shown]
	ds_write_b128 v68, v[44:47] offset:5440
	ds_write_b128 v68, v[48:51] offset:13600
	;; [unrolled: 1-line block ×4, first 2 shown]
	s_and_saveexec_b32 s2, vcc_lo
	s_cbranch_execz .LBB0_3
; %bb.2:
	v_add_co_u32 v0, s0, v0, s0
	v_add_co_ci_u32_e64 v1, s0, s1, v1, s0
	v_add_co_u32 v12, s0, v0, s12
	v_add_co_ci_u32_e64 v13, s0, s13, v1, s0
	global_load_dwordx4 v[0:3], v[0:1], off
	s_clause 0x1
	buffer_load_dword v4, off, s[60:63], 0 offset:24
	buffer_load_dword v5, off, s[60:63], 0 offset:28
	s_waitcnt vmcnt(0)
	global_load_dwordx4 v[4:7], v[4:5], off offset:1472
	s_clause 0x1
	buffer_load_dword v8, off, s[60:63], 0 offset:4
	buffer_load_dword v9, off, s[60:63], 0 offset:8
	s_waitcnt vmcnt(0)
	global_load_dwordx4 v[8:11], v[8:9], off offset:1440
	global_load_dwordx4 v[12:15], v[12:13], off
	v_mul_f64 v[16:17], v[2:3], v[6:7]
	v_mul_f64 v[6:7], v[0:1], v[6:7]
	v_fma_f64 v[0:1], v[0:1], v[4:5], v[16:17]
	v_fma_f64 v[2:3], v[2:3], v[4:5], -v[6:7]
	s_waitcnt vmcnt(0)
	v_mul_f64 v[18:19], v[14:15], v[10:11]
	v_mul_f64 v[10:11], v[12:13], v[10:11]
	v_fma_f64 v[4:5], v[12:13], v[8:9], v[18:19]
	v_fma_f64 v[6:7], v[14:15], v[8:9], -v[10:11]
	ds_write_b128 v68, v[0:3] offset:7616
	ds_write_b128 v68, v[4:7] offset:15776
.LBB0_3:
	s_or_b32 exec_lo, exec_lo, s2
	s_waitcnt lgkmcnt(0)
	s_waitcnt_vscnt null, 0x0
	s_barrier
	buffer_gl0_inv
	ds_read_b128 v[4:7], v68
	ds_read_b128 v[12:15], v68 offset:1088
	ds_read_b128 v[56:59], v68 offset:9248
	;; [unrolled: 1-line block ×13, first 2 shown]
                                        ; implicit-def: $vgpr40_vgpr41
                                        ; implicit-def: $vgpr44_vgpr45
	s_and_saveexec_b32 s0, vcc_lo
	s_cbranch_execz .LBB0_5
; %bb.4:
	ds_read_b128 v[40:43], v68 offset:7616
	ds_read_b128 v[44:47], v68 offset:15776
.LBB0_5:
	s_or_b32 exec_lo, exec_lo, s0
	s_waitcnt lgkmcnt(3)
	v_add_f64 v[132:133], v[4:5], -v[60:61]
	v_add_f64 v[134:135], v[6:7], -v[62:63]
	;; [unrolled: 1-line block ×10, first 2 shown]
	s_waitcnt lgkmcnt(1)
	v_add_f64 v[116:117], v[28:29], -v[48:49]
	v_add_f64 v[118:119], v[30:31], -v[50:51]
	s_waitcnt lgkmcnt(0)
	v_add_f64 v[136:137], v[36:37], -v[20:21]
	v_add_f64 v[138:139], v[38:39], -v[22:23]
	v_add_f64 v[20:21], v[40:41], -v[44:45]
	v_add_f64 v[22:23], v[42:43], -v[46:47]
	s_load_dwordx2 s[2:3], s[4:5], 0x8
	v_add_co_u32 v254, s0, 0x44, v246
	v_add_co_u32 v69, null, 0x88, v246
	v_add_co_u32 v243, null, 0xcc, v246
	v_fma_f64 v[104:105], v[4:5], 2.0, -v[132:133]
	v_fma_f64 v[106:107], v[6:7], 2.0, -v[134:135]
	;; [unrolled: 1-line block ×16, first 2 shown]
	v_lshl_add_u32 v24, v246, 5, v247
	v_lshl_add_u32 v25, v254, 5, v247
	v_add_co_ci_u32_e64 v64, null, 0, 0, s0
	v_add_co_u32 v56, s0, 0x154, v246
	v_add_co_u32 v242, null, 0x110, v246
	v_add_co_ci_u32_e64 v57, null, 0, 0, s0
	v_add_co_u32 v59, s0, 0x198, v246
	v_add_co_u32 v58, null, 0x1dc, v246
	s_waitcnt lgkmcnt(0)
	s_barrier
	buffer_gl0_inv
	ds_write_b128 v24, v[104:107]
	v_lshl_add_u32 v26, v69, 5, v247
	buffer_store_dword v24, off, s[60:63], 0 offset:348 ; 4-byte Folded Spill
	ds_write_b128 v24, v[132:135] offset:16
	ds_write_b128 v25, v[140:143]
	v_lshl_add_u32 v24, v243, 5, v247
	buffer_store_dword v25, off, s[60:63], 0 offset:356 ; 4-byte Folded Spill
	ds_write_b128 v25, v[120:123] offset:16
	;; [unrolled: 4-line block ×3, first 2 shown]
	ds_write_b128 v24, v[112:115]
	buffer_store_dword v24, off, s[60:63], 0 offset:372 ; 4-byte Folded Spill
	ds_write_b128 v24, v[8:11] offset:16
	v_lshl_add_u32 v26, v56, 5, v247
	v_lshl_add_u32 v27, v59, 5, v247
	;; [unrolled: 1-line block ×3, first 2 shown]
	v_add_co_ci_u32_e64 v44, null, 0, 0, s0
	ds_write_b128 v25, v[4:7]
	buffer_store_dword v25, off, s[60:63], 0 offset:380 ; 4-byte Folded Spill
	ds_write_b128 v25, v[0:3] offset:16
	buffer_store_dword v24, off, s[60:63], 0 offset:492 ; 4-byte Folded Spill
	ds_write_b128 v26, v[12:15]
	buffer_store_dword v26, off, s[60:63], 0 offset:388 ; 4-byte Folded Spill
	ds_write_b128 v26, v[116:119] offset:16
	ds_write_b128 v27, v[128:131]
	buffer_store_dword v27, off, s[60:63], 0 offset:396 ; 4-byte Folded Spill
	ds_write_b128 v27, v[136:139] offset:16
	s_and_saveexec_b32 s0, vcc_lo
	s_cbranch_execz .LBB0_7
; %bb.6:
	v_lshl_add_u32 v24, v58, 5, v247
	ds_write_b128 v24, v[16:19]
	ds_write_b128 v24, v[20:23] offset:16
.LBB0_7:
	s_or_b32 exec_lo, exec_lo, s0
	v_cmp_gt_u16_e64 s0, 60, v246
	s_waitcnt lgkmcnt(0)
	s_waitcnt_vscnt null, 0x0
	s_barrier
	buffer_gl0_inv
                                        ; implicit-def: $vgpr24_vgpr25
	s_and_saveexec_b32 s1, s0
	s_cbranch_execz .LBB0_9
; %bb.8:
	ds_read_b128 v[104:107], v68
	ds_read_b128 v[132:135], v68 offset:960
	ds_read_b128 v[140:143], v68 offset:1920
	;; [unrolled: 1-line block ×16, first 2 shown]
.LBB0_9:
	s_or_b32 exec_lo, exec_lo, s1
	v_and_b32_e32 v28, 1, v246
	s_mov_b32 s12, 0x2a9d6da3
	s_mov_b32 s13, 0xbfe58eea
	;; [unrolled: 1-line block ×4, first 2 shown]
	buffer_store_dword v28, off, s[60:63], 0 offset:264 ; 4-byte Folded Spill
	v_lshlrev_b32_e32 v28, 8, v28
	s_mov_b32 s16, 0x370991
	s_mov_b32 s17, 0x3fedd6d0
	;; [unrolled: 1-line block ×3, first 2 shown]
	s_clause 0xb
	global_load_dwordx4 v[100:103], v28, s[2:3]
	global_load_dwordx4 v[80:83], v28, s[2:3] offset:240
	global_load_dwordx4 v[96:99], v28, s[2:3] offset:16
	;; [unrolled: 1-line block ×11, first 2 shown]
	s_mov_b32 s5, 0x3fe7a5f6
	s_mov_b32 s18, 0x7c9e640b
	;; [unrolled: 1-line block ×37, first 2 shown]
	s_waitcnt vmcnt(11) lgkmcnt(15)
	v_mul_f64 v[31:32], v[132:133], v[102:103]
	v_mul_f64 v[29:30], v[134:135], v[102:103]
	v_fma_f64 v[54:55], v[134:135], v[100:101], v[31:32]
	s_waitcnt vmcnt(10) lgkmcnt(0)
	v_mul_f64 v[31:32], v[26:27], v[82:83]
	v_fma_f64 v[48:49], v[132:133], v[100:101], -v[29:30]
	v_mul_f64 v[29:30], v[24:25], v[82:83]
	v_fma_f64 v[66:67], v[24:25], v[80:81], -v[31:32]
	s_waitcnt vmcnt(9)
	v_mul_f64 v[24:25], v[142:143], v[98:99]
	v_fma_f64 v[64:65], v[26:27], v[80:81], v[29:30]
	v_mul_f64 v[26:27], v[140:141], v[98:99]
	v_add_f64 v[166:167], v[48:49], v[66:67]
	v_fma_f64 v[29:30], v[140:141], v[96:97], -v[24:25]
	s_waitcnt vmcnt(8)
	v_mul_f64 v[24:25], v[20:21], v[62:63]
	v_fma_f64 v[31:32], v[142:143], v[96:97], v[26:27]
	v_mul_f64 v[26:27], v[22:23], v[62:63]
	v_add_f64 v[176:177], v[54:55], -v[64:65]
	v_add_f64 v[216:217], v[48:49], -v[66:67]
	v_add_f64 v[198:199], v[54:55], v[64:65]
	v_fma_f64 v[72:73], v[22:23], v[60:61], v[24:25]
	buffer_store_dword v60, off, s[60:63], 0 offset:332 ; 4-byte Folded Spill
	buffer_store_dword v61, off, s[60:63], 0 offset:336 ; 4-byte Folded Spill
	;; [unrolled: 1-line block ×4, first 2 shown]
	s_waitcnt vmcnt(7)
	v_mul_f64 v[22:23], v[120:121], v[94:95]
	v_mul_f64 v[232:233], v[176:177], s[12:13]
	;; [unrolled: 1-line block ×4, first 2 shown]
	v_add_f64 v[236:237], v[31:32], -v[72:73]
	v_mul_f64 v[208:209], v[236:237], s[46:47]
	v_mul_f64 v[218:219], v[236:237], s[26:27]
	v_fma_f64 v[60:61], v[20:21], v[60:61], -v[26:27]
	v_mul_f64 v[20:21], v[122:123], v[94:95]
	v_fma_f64 v[26:27], v[122:123], v[92:93], v[22:23]
	s_waitcnt vmcnt(6)
	v_mul_f64 v[22:23], v[16:17], v[52:53]
	v_add_f64 v[194:195], v[29:30], v[60:61]
	v_fma_f64 v[24:25], v[120:121], v[92:93], -v[20:21]
	v_mul_f64 v[20:21], v[18:19], v[52:53]
	v_fma_f64 v[62:63], v[16:17], v[50:51], -v[20:21]
	buffer_store_dword v50, off, s[60:63], 0 offset:316 ; 4-byte Folded Spill
	buffer_store_dword v51, off, s[60:63], 0 offset:320 ; 4-byte Folded Spill
	buffer_store_dword v52, off, s[60:63], 0 offset:324 ; 4-byte Folded Spill
	buffer_store_dword v53, off, s[60:63], 0 offset:328 ; 4-byte Folded Spill
	s_waitcnt vmcnt(5)
	v_mul_f64 v[16:17], v[126:127], v[90:91]
	v_add_f64 v[164:165], v[24:25], v[62:63]
	v_fma_f64 v[74:75], v[18:19], v[50:51], v[22:23]
	v_mul_f64 v[18:19], v[124:125], v[90:91]
	v_fma_f64 v[50:51], v[124:125], v[88:89], -v[16:17]
	s_waitcnt vmcnt(4)
	v_mul_f64 v[16:17], v[138:139], v[43:44]
	v_add_f64 v[244:245], v[26:27], -v[74:75]
	v_fma_f64 v[52:53], v[126:127], v[88:89], v[18:19]
	v_mul_f64 v[18:19], v[136:137], v[43:44]
	v_fma_f64 v[248:249], v[136:137], v[41:42], -v[16:17]
	buffer_store_dword v41, off, s[60:63], 0 offset:300 ; 4-byte Folded Spill
	buffer_store_dword v42, off, s[60:63], 0 offset:304 ; 4-byte Folded Spill
	;; [unrolled: 1-line block ×4, first 2 shown]
	s_waitcnt vmcnt(3)
	v_mul_f64 v[16:17], v[110:111], v[86:87]
	v_mul_f64 v[188:189], v[244:245], s[26:27]
	v_add_f64 v[124:125], v[50:51], v[248:249]
	v_fma_f64 v[41:42], v[138:139], v[41:42], v[18:19]
	v_mul_f64 v[18:19], v[108:109], v[86:87]
	v_fma_f64 v[108:109], v[108:109], v[84:85], -v[16:17]
	s_waitcnt vmcnt(2)
	v_mul_f64 v[16:17], v[130:131], v[35:36]
	v_add_f64 v[126:127], v[52:53], -v[41:42]
	v_fma_f64 v[110:111], v[110:111], v[84:85], v[18:19]
	v_mul_f64 v[18:19], v[128:129], v[35:36]
	v_fma_f64 v[252:253], v[128:129], v[33:34], -v[16:17]
	buffer_store_dword v33, off, s[60:63], 0 offset:268 ; 4-byte Folded Spill
	buffer_store_dword v34, off, s[60:63], 0 offset:272 ; 4-byte Folded Spill
	;; [unrolled: 1-line block ×4, first 2 shown]
	s_waitcnt vmcnt(1)
	v_mul_f64 v[16:17], v[114:115], v[78:79]
	v_add_f64 v[220:221], v[52:53], v[41:42]
	v_add_f64 v[128:129], v[108:109], v[252:253]
	v_fma_f64 v[120:121], v[112:113], v[76:77], -v[16:17]
	s_waitcnt vmcnt(0)
	v_mul_f64 v[16:17], v[118:119], v[39:40]
	v_fma_f64 v[44:45], v[116:117], v[37:38], -v[16:17]
	v_add_f64 v[178:179], v[120:121], v[44:45]
	v_add_f64 v[230:231], v[120:121], -v[44:45]
	v_fma_f64 v[34:35], v[130:131], v[33:34], v[18:19]
	v_mul_f64 v[18:19], v[112:113], v[78:79]
	v_add_f64 v[130:131], v[110:111], -v[34:35]
	v_fma_f64 v[122:123], v[114:115], v[76:77], v[18:19]
	v_mul_f64 v[18:19], v[116:117], v[39:40]
	buffer_store_dword v37, off, s[60:63], 0 offset:284 ; 4-byte Folded Spill
	buffer_store_dword v38, off, s[60:63], 0 offset:288 ; 4-byte Folded Spill
	;; [unrolled: 1-line block ×4, first 2 shown]
	s_clause 0x3
	global_load_dwordx4 v[144:147], v28, s[2:3] offset:96
	global_load_dwordx4 v[136:139], v28, s[2:3] offset:112
	;; [unrolled: 1-line block ×4, first 2 shown]
	v_mul_f64 v[116:117], v[176:177], s[20:21]
	v_add_f64 v[228:229], v[110:111], v[34:35]
	v_fma_f64 v[46:47], v[118:119], v[37:38], v[18:19]
	v_mul_f64 v[38:39], v[244:245], s[18:19]
	v_mul_f64 v[36:37], v[126:127], s[46:47]
	s_waitcnt vmcnt(3)
	v_mul_f64 v[16:17], v[10:11], v[146:147]
	v_add_f64 v[18:19], v[108:109], -v[252:253]
	v_add_f64 v[190:191], v[122:123], -v[46:47]
	v_add_f64 v[224:225], v[122:123], v[46:47]
	v_fma_f64 v[168:169], v[8:9], v[144:145], -v[16:17]
	v_mul_f64 v[8:9], v[8:9], v[146:147]
	v_mul_f64 v[16:17], v[126:127], s[54:55]
	;; [unrolled: 1-line block ×4, first 2 shown]
	v_fma_f64 v[174:175], v[10:11], v[144:145], v[8:9]
	s_waitcnt vmcnt(1)
	v_mul_f64 v[8:9], v[14:15], v[154:155]
	v_mul_f64 v[10:11], v[126:127], s[48:49]
	v_fma_f64 v[112:113], v[12:13], v[152:153], -v[8:9]
	v_mul_f64 v[8:9], v[12:13], v[154:155]
	v_mul_f64 v[12:13], v[176:177], s[18:19]
	v_add_f64 v[172:173], v[168:169], v[112:113]
	v_fma_f64 v[114:115], v[14:15], v[152:153], v[8:9]
	v_mul_f64 v[8:9], v[6:7], v[138:139]
	v_add_f64 v[204:205], v[168:169], -v[112:113]
	v_mul_f64 v[14:15], v[216:217], s[18:19]
	v_add_f64 v[180:181], v[174:175], -v[114:115]
	v_fma_f64 v[200:201], v[4:5], v[136:137], -v[8:9]
	v_mul_f64 v[4:5], v[4:5], v[138:139]
	v_add_f64 v[214:215], v[174:175], v[114:115]
	v_mul_f64 v[8:9], v[244:245], s[56:57]
	v_fma_f64 v[206:207], v[6:7], v[136:137], v[4:5]
	s_waitcnt vmcnt(0)
	v_mul_f64 v[4:5], v[2:3], v[158:159]
	v_fma_f64 v[132:133], v[0:1], v[156:157], -v[4:5]
	v_mul_f64 v[0:1], v[0:1], v[158:159]
	v_add_f64 v[118:119], v[200:201], v[132:133]
	v_fma_f64 v[162:163], v[2:3], v[156:157], v[0:1]
	v_mul_f64 v[2:3], v[236:237], s[12:13]
	buffer_store_dword v2, off, s[60:63], 0 offset:452 ; 4-byte Folded Spill
	buffer_store_dword v3, off, s[60:63], 0 offset:456 ; 4-byte Folded Spill
	;; [unrolled: 1-line block ×6, first 2 shown]
	v_fma_f64 v[0:1], v[166:167], s[16:17], v[116:117]
	v_add_f64 v[170:171], v[206:207], -v[162:163]
	v_add_f64 v[134:135], v[200:201], -v[132:133]
	v_add_f64 v[202:203], v[206:207], v[162:163]
	v_add_f64 v[0:1], v[104:105], v[0:1]
	v_fma_f64 v[2:3], v[194:195], s[4:5], v[2:3]
	v_add_f64 v[238:239], v[29:30], -v[60:61]
	v_add_f64 v[212:213], v[31:32], v[72:73]
	v_add_f64 v[0:1], v[2:3], v[0:1]
	v_mul_f64 v[4:5], v[238:239], s[12:13]
	buffer_store_dword v4, off, s[60:63], 0 offset:476 ; 4-byte Folded Spill
	buffer_store_dword v5, off, s[60:63], 0 offset:480 ; 4-byte Folded Spill
	;; [unrolled: 1-line block ×4, first 2 shown]
	v_fma_f64 v[2:3], v[198:199], s[16:17], -v[192:193]
	buffer_store_dword v26, off, s[60:63], 0 offset:420 ; 4-byte Folded Spill
	buffer_store_dword v27, off, s[60:63], 0 offset:424 ; 4-byte Folded Spill
	v_mul_f64 v[210:211], v[238:239], s[46:47]
	v_mul_f64 v[28:29], v[238:239], s[26:27]
	v_add_f64 v[2:3], v[106:107], v[2:3]
	v_fma_f64 v[4:5], v[212:213], s[4:5], -v[4:5]
	v_add_f64 v[240:241], v[24:25], -v[62:63]
	v_add_f64 v[24:25], v[50:51], -v[248:249]
	v_add_f64 v[182:183], v[26:27], v[74:75]
	v_add_f64 v[2:3], v[4:5], v[2:3]
	v_fma_f64 v[4:5], v[164:165], s[14:15], v[38:39]
	v_mul_f64 v[196:197], v[240:241], s[26:27]
	v_mul_f64 v[160:161], v[24:25], s[54:55]
	;; [unrolled: 1-line block ×4, first 2 shown]
	v_add_f64 v[0:1], v[4:5], v[0:1]
	v_mul_f64 v[4:5], v[240:241], s[18:19]
	buffer_store_dword v4, off, s[60:63], 0 offset:436 ; 4-byte Folded Spill
	buffer_store_dword v5, off, s[60:63], 0 offset:440 ; 4-byte Folded Spill
	v_fma_f64 v[4:5], v[182:183], s[14:15], -v[4:5]
	v_add_f64 v[2:3], v[4:5], v[2:3]
	v_fma_f64 v[4:5], v[124:125], s[22:23], v[36:37]
	v_add_f64 v[0:1], v[4:5], v[0:1]
	v_mul_f64 v[4:5], v[24:25], s[46:47]
	buffer_store_dword v4, off, s[60:63], 0 offset:500 ; 4-byte Folded Spill
	buffer_store_dword v5, off, s[60:63], 0 offset:504 ; 4-byte Folded Spill
	v_fma_f64 v[4:5], v[220:221], s[22:23], -v[4:5]
	v_add_f64 v[2:3], v[4:5], v[2:3]
	v_mul_f64 v[4:5], v[130:131], s[50:51]
	buffer_store_dword v4, off, s[60:63], 0 offset:428 ; 4-byte Folded Spill
	buffer_store_dword v5, off, s[60:63], 0 offset:432 ; 4-byte Folded Spill
	v_fma_f64 v[4:5], v[128:129], s[28:29], v[4:5]
	v_add_f64 v[0:1], v[4:5], v[0:1]
	v_mul_f64 v[4:5], v[18:19], s[50:51]
	buffer_store_dword v4, off, s[60:63], 0 offset:532 ; 4-byte Folded Spill
	buffer_store_dword v5, off, s[60:63], 0 offset:536 ; 4-byte Folded Spill
	v_fma_f64 v[4:5], v[228:229], s[28:29], -v[4:5]
	v_add_f64 v[2:3], v[4:5], v[2:3]
	v_mul_f64 v[4:5], v[190:191], s[26:27]
	buffer_store_dword v4, off, s[60:63], 0 offset:460 ; 4-byte Folded Spill
	buffer_store_dword v5, off, s[60:63], 0 offset:464 ; 4-byte Folded Spill
	;; [unrolled: 10-line block ×4, first 2 shown]
	v_fma_f64 v[4:5], v[118:119], s[34:35], v[4:5]
	v_add_f64 v[184:185], v[4:5], v[0:1]
	v_mul_f64 v[0:1], v[134:135], s[54:55]
	buffer_store_dword v0, off, s[60:63], 0 offset:484 ; 4-byte Folded Spill
	buffer_store_dword v1, off, s[60:63], 0 offset:488 ; 4-byte Folded Spill
	v_fma_f64 v[4:5], v[212:213], s[22:23], -v[210:211]
	v_fma_f64 v[0:1], v[202:203], s[34:35], -v[0:1]
	v_add_f64 v[186:187], v[0:1], v[2:3]
	v_fma_f64 v[0:1], v[166:167], s[4:5], v[232:233]
	v_fma_f64 v[2:3], v[194:195], s[22:23], v[208:209]
	v_add_f64 v[0:1], v[104:105], v[0:1]
	v_add_f64 v[0:1], v[2:3], v[0:1]
	v_fma_f64 v[2:3], v[198:199], s[4:5], -v[234:235]
	v_add_f64 v[2:3], v[106:107], v[2:3]
	v_add_f64 v[2:3], v[4:5], v[2:3]
	v_fma_f64 v[4:5], v[164:165], s[24:25], v[188:189]
	v_add_f64 v[0:1], v[4:5], v[0:1]
	v_fma_f64 v[4:5], v[182:183], s[24:25], -v[196:197]
	v_add_f64 v[2:3], v[4:5], v[2:3]
	v_fma_f64 v[4:5], v[124:125], s[34:35], v[16:17]
	v_add_f64 v[0:1], v[4:5], v[0:1]
	v_fma_f64 v[4:5], v[220:221], s[34:35], -v[160:161]
	v_add_f64 v[4:5], v[4:5], v[2:3]
	v_mul_f64 v[2:3], v[130:131], s[38:39]
	buffer_store_dword v2, off, s[60:63], 0 offset:588 ; 4-byte Folded Spill
	buffer_store_dword v3, off, s[60:63], 0 offset:592 ; 4-byte Folded Spill
	v_fma_f64 v[6:7], v[128:129], s[30:31], v[2:3]
	v_mul_f64 v[2:3], v[230:231], s[48:49]
	v_add_f64 v[0:1], v[6:7], v[0:1]
	v_fma_f64 v[6:7], v[228:229], s[30:31], -v[22:23]
	v_add_f64 v[4:5], v[6:7], v[4:5]
	v_mul_f64 v[6:7], v[190:191], s[48:49]
	buffer_store_dword v6, off, s[60:63], 0 offset:572 ; 4-byte Folded Spill
	buffer_store_dword v7, off, s[60:63], 0 offset:576 ; 4-byte Folded Spill
	v_fma_f64 v[6:7], v[178:179], s[28:29], v[6:7]
	v_add_f64 v[0:1], v[6:7], v[0:1]
	v_fma_f64 v[6:7], v[224:225], s[28:29], -v[2:3]
	v_add_f64 v[4:5], v[6:7], v[4:5]
	v_mul_f64 v[6:7], v[180:181], s[40:41]
	buffer_store_dword v6, off, s[60:63], 0 offset:556 ; 4-byte Folded Spill
	buffer_store_dword v7, off, s[60:63], 0 offset:560 ; 4-byte Folded Spill
	v_fma_f64 v[6:7], v[172:173], s[14:15], v[6:7]
	v_add_f64 v[0:1], v[6:7], v[0:1]
	v_mul_f64 v[6:7], v[204:205], s[40:41]
	buffer_store_dword v6, off, s[60:63], 0 offset:564 ; 4-byte Folded Spill
	buffer_store_dword v7, off, s[60:63], 0 offset:568 ; 4-byte Folded Spill
	v_fma_f64 v[6:7], v[214:215], s[14:15], -v[6:7]
	v_add_f64 v[4:5], v[6:7], v[4:5]
	v_mul_f64 v[6:7], v[170:171], s[44:45]
	buffer_store_dword v6, off, s[60:63], 0 offset:540 ; 4-byte Folded Spill
	buffer_store_dword v7, off, s[60:63], 0 offset:544 ; 4-byte Folded Spill
	v_fma_f64 v[6:7], v[118:119], s[16:17], v[6:7]
	v_add_f64 v[148:149], v[6:7], v[0:1]
	v_mul_f64 v[0:1], v[134:135], s[44:45]
	buffer_store_dword v0, off, s[60:63], 0 offset:548 ; 4-byte Folded Spill
	buffer_store_dword v1, off, s[60:63], 0 offset:552 ; 4-byte Folded Spill
	v_fma_f64 v[6:7], v[212:213], s[24:25], -v[28:29]
	v_fma_f64 v[0:1], v[202:203], s[16:17], -v[0:1]
	v_add_f64 v[150:151], v[0:1], v[4:5]
	v_fma_f64 v[0:1], v[166:167], s[14:15], v[12:13]
	v_fma_f64 v[4:5], v[194:195], s[24:25], v[218:219]
	v_add_f64 v[0:1], v[104:105], v[0:1]
	v_add_f64 v[0:1], v[4:5], v[0:1]
	v_fma_f64 v[4:5], v[198:199], s[14:15], -v[14:15]
	v_add_f64 v[4:5], v[106:107], v[4:5]
	v_add_f64 v[4:5], v[6:7], v[4:5]
	v_fma_f64 v[6:7], v[164:165], s[34:35], v[8:9]
	v_add_f64 v[0:1], v[6:7], v[0:1]
	v_fma_f64 v[6:7], v[182:183], s[34:35], -v[30:31]
	v_add_f64 v[4:5], v[6:7], v[4:5]
	v_fma_f64 v[6:7], v[124:125], s[28:29], v[10:11]
	v_add_f64 v[0:1], v[6:7], v[0:1]
	v_fma_f64 v[6:7], v[220:221], s[28:29], -v[222:223]
	v_add_f64 v[4:5], v[6:7], v[4:5]
	v_mul_f64 v[6:7], v[130:131], s[42:43]
	v_fma_f64 v[20:21], v[128:129], s[4:5], v[6:7]
	v_add_f64 v[0:1], v[20:21], v[0:1]
	v_fma_f64 v[20:21], v[228:229], s[4:5], -v[226:227]
	v_add_f64 v[26:27], v[20:21], v[4:5]
	v_mul_f64 v[20:21], v[190:191], s[20:21]
	v_fma_f64 v[4:5], v[178:179], s[16:17], v[20:21]
	v_add_f64 v[0:1], v[4:5], v[0:1]
	v_mul_f64 v[4:5], v[230:231], s[20:21]
	v_fma_f64 v[140:141], v[224:225], s[16:17], -v[4:5]
	v_add_f64 v[140:141], v[140:141], v[26:27]
	v_mul_f64 v[26:27], v[180:181], s[46:47]
	buffer_store_dword v26, off, s[60:63], 0 offset:580 ; 4-byte Folded Spill
	buffer_store_dword v27, off, s[60:63], 0 offset:584 ; 4-byte Folded Spill
	s_waitcnt_vscnt null, 0x0
	s_barrier
	buffer_gl0_inv
	v_fma_f64 v[142:143], v[172:173], s[22:23], v[26:27]
	v_mul_f64 v[26:27], v[170:171], s[36:37]
	v_add_f64 v[142:143], v[142:143], v[0:1]
	v_mul_f64 v[0:1], v[204:205], s[46:47]
	v_fma_f64 v[250:251], v[214:215], s[22:23], -v[0:1]
	v_add_f64 v[32:33], v[250:251], v[140:141]
	v_fma_f64 v[140:141], v[118:119], s[30:31], v[26:27]
	v_mul_f64 v[250:251], v[134:135], s[36:37]
	v_add_f64 v[140:141], v[140:141], v[142:143]
	v_fma_f64 v[142:143], v[202:203], s[30:31], -v[250:251]
	v_add_f64 v[142:143], v[142:143], v[32:33]
	s_mov_b32 s1, exec_lo
	s_and_b32 s33, s1, s0
	buffer_store_dword v246, off, s[60:63], 0 ; 4-byte Folded Spill
	buffer_store_dword v247, off, s[60:63], 0 offset:12 ; 4-byte Folded Spill
	s_mov_b32 exec_lo, s33
	s_cbranch_execz .LBB0_11
; %bb.10:
	v_mul_f64 v[32:33], v[198:199], s[34:35]
	buffer_store_dword v34, off, s[60:63], 0 offset:724 ; 4-byte Folded Spill
	buffer_store_dword v35, off, s[60:63], 0 offset:728 ; 4-byte Folded Spill
	v_mul_f64 v[246:247], v[212:213], s[16:17]
	buffer_store_dword v248, off, s[60:63], 0 offset:692 ; 4-byte Folded Spill
	buffer_store_dword v249, off, s[60:63], 0 offset:696 ; 4-byte Folded Spill
	;; [unrolled: 1-line block ×6, first 2 shown]
	v_mul_f64 v[36:37], v[236:237], s[44:45]
	buffer_store_dword v38, off, s[60:63], 0 offset:788 ; 4-byte Folded Spill
	buffer_store_dword v39, off, s[60:63], 0 offset:792 ; 4-byte Folded Spill
	;; [unrolled: 1-line block ×6, first 2 shown]
	v_mov_b32_e32 v57, v254
	buffer_store_dword v41, off, s[60:63], 0 offset:732 ; 4-byte Folded Spill
	buffer_store_dword v42, off, s[60:63], 0 offset:736 ; 4-byte Folded Spill
	s_mov_b32 s53, 0x3fe9895b
	s_mov_b32 s52, s26
	buffer_store_dword v64, off, s[60:63], 0 offset:612 ; 4-byte Folded Spill
	buffer_store_dword v65, off, s[60:63], 0 offset:616 ; 4-byte Folded Spill
	;; [unrolled: 1-line block ×12, first 2 shown]
	s_mov_b32 s59, 0x3fefdd0d
	s_mov_b32 s58, s46
	v_fma_f64 v[34:35], v[216:217], s[56:57], v[32:33]
	buffer_store_dword v2, off, s[60:63], 0 offset:772 ; 4-byte Folded Spill
	buffer_store_dword v3, off, s[60:63], 0 offset:776 ; 4-byte Folded Spill
	v_fma_f64 v[248:249], v[238:239], s[20:21], v[246:247]
	buffer_store_dword v0, off, s[60:63], 0 offset:740 ; 4-byte Folded Spill
	buffer_store_dword v1, off, s[60:63], 0 offset:744 ; 4-byte Folded Spill
	v_fma_f64 v[38:39], v[194:195], s[16:17], v[36:37]
	v_fma_f64 v[36:37], v[194:195], s[16:17], -v[36:37]
	v_add_f64 v[34:35], v[106:107], v[34:35]
	v_add_f64 v[34:35], v[248:249], v[34:35]
	v_mul_f64 v[248:249], v[176:177], s[54:55]
	v_fma_f64 v[250:251], v[166:167], s[34:35], v[248:249]
	v_add_f64 v[250:251], v[104:105], v[250:251]
	v_add_f64 v[38:39], v[38:39], v[250:251]
	v_mul_f64 v[250:251], v[182:183], s[30:31]
	v_fma_f64 v[252:253], v[240:241], s[38:39], v[250:251]
	v_add_f64 v[34:35], v[252:253], v[34:35]
	v_mul_f64 v[252:253], v[244:245], s[36:37]
	v_fma_f64 v[26:27], v[164:165], s[30:31], v[252:253]
	;; [unrolled: 3-line block ×12, first 2 shown]
	v_fma_f64 v[34:35], v[118:119], s[22:23], -v[34:35]
	v_add_f64 v[0:1], v[74:75], v[26:27]
	v_fma_f64 v[26:27], v[216:217], s[54:55], v[32:33]
	v_fma_f64 v[32:33], v[238:239], s[44:45], v[246:247]
	buffer_store_dword v0, off, s[60:63], 0 offset:596 ; 4-byte Folded Spill
	buffer_store_dword v1, off, s[60:63], 0 offset:600 ; 4-byte Folded Spill
	;; [unrolled: 1-line block ×4, first 2 shown]
	v_add_f64 v[26:27], v[106:107], v[26:27]
	v_add_f64 v[26:27], v[32:33], v[26:27]
	v_fma_f64 v[32:33], v[166:167], s[34:35], -v[248:249]
	v_add_f64 v[32:33], v[104:105], v[32:33]
	v_add_f64 v[32:33], v[36:37], v[32:33]
	v_fma_f64 v[36:37], v[240:241], s[36:37], v[250:251]
	v_add_f64 v[26:27], v[36:37], v[26:27]
	v_fma_f64 v[36:37], v[164:165], s[30:31], -v[252:253]
	v_add_f64 v[32:33], v[36:37], v[32:33]
	v_fma_f64 v[36:37], v[24:25], s[42:43], v[38:39]
	v_add_f64 v[26:27], v[36:37], v[26:27]
	v_fma_f64 v[36:37], v[124:125], s[4:5], -v[254:255]
	v_add_f64 v[32:33], v[36:37], v[32:33]
	v_fma_f64 v[36:37], v[18:19], s[26:27], v[40:41]
	v_mul_f64 v[40:41], v[236:237], s[40:41]
	v_add_f64 v[26:27], v[36:37], v[26:27]
	v_fma_f64 v[36:37], v[128:129], s[24:25], -v[42:43]
	v_fma_f64 v[42:43], v[194:195], s[14:15], v[40:41]
	v_add_f64 v[32:33], v[36:37], v[32:33]
	v_fma_f64 v[36:37], v[230:231], s[40:41], v[64:65]
	v_add_f64 v[26:27], v[36:37], v[26:27]
	v_fma_f64 v[36:37], v[178:179], s[14:15], -v[66:67]
	v_add_f64 v[32:33], v[36:37], v[32:33]
	v_fma_f64 v[36:37], v[204:205], s[50:51], v[60:61]
	v_add_f64 v[26:27], v[36:37], v[26:27]
	v_fma_f64 v[36:37], v[172:173], s[28:29], -v[62:63]
	v_add_f64 v[32:33], v[36:37], v[32:33]
	v_fma_f64 v[36:37], v[134:135], s[58:59], v[72:73]
	v_add_f64 v[0:1], v[34:35], v[32:33]
	v_add_f64 v[2:3], v[36:37], v[26:27]
	v_mul_f64 v[26:27], v[198:199], s[30:31]
	v_mul_f64 v[34:35], v[212:213], s[14:15]
	buffer_store_dword v0, off, s[60:63], 0 offset:628 ; 4-byte Folded Spill
	buffer_store_dword v1, off, s[60:63], 0 offset:632 ; 4-byte Folded Spill
	;; [unrolled: 1-line block ×4, first 2 shown]
	v_fma_f64 v[32:33], v[216:217], s[38:39], v[26:27]
	v_fma_f64 v[36:37], v[238:239], s[18:19], v[34:35]
	;; [unrolled: 1-line block ×4, first 2 shown]
	v_add_f64 v[32:33], v[106:107], v[32:33]
	v_add_f64 v[26:27], v[106:107], v[26:27]
	;; [unrolled: 1-line block ×3, first 2 shown]
	v_mul_f64 v[36:37], v[176:177], s[36:37]
	v_add_f64 v[26:27], v[34:35], v[26:27]
	v_fma_f64 v[38:39], v[166:167], s[30:31], v[36:37]
	v_fma_f64 v[34:35], v[166:167], s[30:31], -v[36:37]
	v_fma_f64 v[36:37], v[194:195], s[14:15], -v[40:41]
	v_add_f64 v[38:39], v[104:105], v[38:39]
	v_add_f64 v[34:35], v[104:105], v[34:35]
	;; [unrolled: 1-line block ×3, first 2 shown]
	v_mul_f64 v[42:43], v[182:183], s[22:23]
	v_add_f64 v[34:35], v[36:37], v[34:35]
	v_fma_f64 v[60:61], v[240:241], s[58:59], v[42:43]
	v_fma_f64 v[36:37], v[240:241], s[46:47], v[42:43]
	v_mul_f64 v[42:43], v[198:199], s[14:15]
	v_add_f64 v[32:33], v[60:61], v[32:33]
	v_mul_f64 v[60:61], v[244:245], s[46:47]
	v_add_f64 v[26:27], v[36:37], v[26:27]
	v_add_f64 v[14:15], v[14:15], v[42:43]
	v_mul_f64 v[42:43], v[166:167], s[14:15]
	v_fma_f64 v[62:63], v[164:165], s[22:23], v[60:61]
	v_fma_f64 v[36:37], v[164:165], s[22:23], -v[60:61]
	v_mul_f64 v[60:61], v[166:167], s[4:5]
	v_add_f64 v[12:13], v[42:43], -v[12:13]
	v_mul_f64 v[42:43], v[198:199], s[4:5]
	v_add_f64 v[38:39], v[62:63], v[38:39]
	v_mul_f64 v[62:63], v[220:221], s[24:25]
	v_add_f64 v[34:35], v[36:37], v[34:35]
	v_add_f64 v[60:61], v[60:61], -v[232:233]
	v_add_f64 v[42:43], v[234:235], v[42:43]
	v_mul_f64 v[232:233], v[224:225], s[4:5]
	v_mul_f64 v[234:235], v[214:215], s[34:35]
	v_fma_f64 v[64:65], v[24:25], s[26:27], v[62:63]
	v_fma_f64 v[36:37], v[24:25], s[52:53], v[62:63]
	v_mul_f64 v[62:63], v[198:199], s[16:17]
	v_add_f64 v[60:61], v[104:105], v[60:61]
	v_add_f64 v[42:43], v[106:107], v[42:43]
	;; [unrolled: 1-line block ×3, first 2 shown]
	v_mul_f64 v[64:65], v[126:127], s[52:53]
	v_add_f64 v[26:27], v[36:37], v[26:27]
	v_add_f64 v[62:63], v[192:193], v[62:63]
	v_fma_f64 v[66:67], v[124:125], s[24:25], v[64:65]
	v_fma_f64 v[36:37], v[124:125], s[24:25], -v[64:65]
	v_mul_f64 v[64:65], v[176:177], s[26:27]
	v_add_f64 v[62:63], v[106:107], v[62:63]
	v_add_f64 v[38:39], v[66:67], v[38:39]
	v_mul_f64 v[66:67], v[228:229], s[16:17]
	v_add_f64 v[34:35], v[36:37], v[34:35]
	v_fma_f64 v[72:73], v[18:19], s[44:45], v[66:67]
	v_fma_f64 v[36:37], v[18:19], s[20:21], v[66:67]
	v_mul_f64 v[66:67], v[176:177], s[50:51]
	v_add_f64 v[32:33], v[72:73], v[32:33]
	v_mul_f64 v[72:73], v[130:131], s[20:21]
	v_add_f64 v[26:27], v[36:37], v[26:27]
	v_fma_f64 v[74:75], v[128:129], s[16:17], v[72:73]
	v_fma_f64 v[36:37], v[128:129], s[16:17], -v[72:73]
	v_mul_f64 v[72:73], v[176:177], s[46:47]
	v_fma_f64 v[176:177], v[166:167], s[28:29], v[66:67]
	v_fma_f64 v[66:67], v[166:167], s[28:29], -v[66:67]
	v_add_f64 v[38:39], v[74:75], v[38:39]
	v_mul_f64 v[74:75], v[224:225], s[34:35]
	v_add_f64 v[34:35], v[36:37], v[34:35]
	v_fma_f64 v[192:193], v[166:167], s[22:23], v[72:73]
	v_fma_f64 v[72:73], v[166:167], s[22:23], -v[72:73]
	v_add_f64 v[66:67], v[104:105], v[66:67]
	v_fma_f64 v[246:247], v[230:231], s[56:57], v[74:75]
	v_fma_f64 v[36:37], v[230:231], s[54:55], v[74:75]
	;; [unrolled: 1-line block ×3, first 2 shown]
	v_fma_f64 v[64:65], v[166:167], s[24:25], -v[64:65]
	v_mul_f64 v[166:167], v[166:167], s[16:17]
	v_add_f64 v[72:73], v[104:105], v[72:73]
	v_add_f64 v[32:33], v[246:247], v[32:33]
	v_mul_f64 v[246:247], v[190:191], s[54:55]
	v_add_f64 v[26:27], v[36:37], v[26:27]
	v_add_f64 v[74:75], v[104:105], v[74:75]
	v_add_f64 v[116:117], v[166:167], -v[116:117]
	v_add_f64 v[166:167], v[104:105], v[176:177]
	v_add_f64 v[176:177], v[104:105], v[192:193]
	;; [unrolled: 1-line block ×3, first 2 shown]
	v_mul_f64 v[14:15], v[212:213], s[28:29]
	v_add_f64 v[64:65], v[104:105], v[64:65]
	v_fma_f64 v[248:249], v[178:179], s[34:35], v[246:247]
	v_fma_f64 v[36:37], v[178:179], s[34:35], -v[246:247]
	v_mul_f64 v[246:247], v[236:237], s[48:49]
	v_add_f64 v[116:117], v[104:105], v[116:117]
	v_add_f64 v[38:39], v[248:249], v[38:39]
	v_mul_f64 v[248:249], v[214:215], s[4:5]
	v_add_f64 v[34:35], v[36:37], v[34:35]
	v_fma_f64 v[250:251], v[204:205], s[12:13], v[248:249]
	v_fma_f64 v[36:37], v[204:205], s[42:43], v[248:249]
	v_add_f64 v[32:33], v[250:251], v[32:33]
	v_mul_f64 v[250:251], v[180:181], s[42:43]
	v_add_f64 v[26:27], v[36:37], v[26:27]
	v_fma_f64 v[252:253], v[172:173], s[4:5], v[250:251]
	v_fma_f64 v[36:37], v[172:173], s[4:5], -v[250:251]
	v_add_f64 v[38:39], v[252:253], v[38:39]
	v_mul_f64 v[252:253], v[202:203], s[28:29]
	v_add_f64 v[34:35], v[36:37], v[34:35]
	v_fma_f64 v[254:255], v[134:135], s[48:49], v[252:253]
	v_fma_f64 v[36:37], v[134:135], s[50:51], v[252:253]
	v_add_f64 v[2:3], v[254:255], v[32:33]
	v_mul_f64 v[32:33], v[170:171], s[50:51]
	v_fma_f64 v[254:255], v[118:119], s[28:29], v[32:33]
	v_fma_f64 v[32:33], v[118:119], s[28:29], -v[32:33]
	v_add_f64 v[0:1], v[254:255], v[38:39]
	buffer_store_dword v0, off, s[60:63], 0 offset:676 ; 4-byte Folded Spill
	buffer_store_dword v1, off, s[60:63], 0 offset:680 ; 4-byte Folded Spill
	;; [unrolled: 1-line block ×4, first 2 shown]
	v_add_f64 v[2:3], v[36:37], v[26:27]
	v_mul_f64 v[26:27], v[198:199], s[24:25]
	v_add_f64 v[0:1], v[32:33], v[34:35]
	v_mul_f64 v[34:35], v[198:199], s[28:29]
	v_mul_f64 v[38:39], v[198:199], s[22:23]
	v_add_f64 v[198:199], v[104:105], v[12:13]
	v_fma_f64 v[12:13], v[238:239], s[50:51], v[14:15]
	v_add_f64 v[104:105], v[104:105], v[48:49]
	v_fma_f64 v[14:15], v[238:239], s[48:49], v[14:15]
	buffer_store_dword v0, off, s[60:63], 0 offset:748 ; 4-byte Folded Spill
	buffer_store_dword v1, off, s[60:63], 0 offset:752 ; 4-byte Folded Spill
	;; [unrolled: 1-line block ×4, first 2 shown]
	v_fma_f64 v[32:33], v[216:217], s[52:53], v[26:27]
	v_fma_f64 v[26:27], v[216:217], s[26:27], v[26:27]
	;; [unrolled: 1-line block ×6, first 2 shown]
	v_mul_f64 v[216:217], v[228:229], s[22:23]
	v_add_f64 v[32:33], v[106:107], v[32:33]
	v_add_f64 v[26:27], v[106:107], v[26:27]
	;; [unrolled: 1-line block ×8, first 2 shown]
	v_mul_f64 v[32:33], v[182:183], s[16:17]
	v_add_f64 v[14:15], v[14:15], v[26:27]
	v_fma_f64 v[48:49], v[240:241], s[44:45], v[32:33]
	v_fma_f64 v[26:27], v[240:241], s[20:21], v[32:33]
	v_add_f64 v[12:13], v[48:49], v[12:13]
	v_mul_f64 v[48:49], v[220:221], s[30:31]
	v_add_f64 v[14:15], v[26:27], v[14:15]
	v_fma_f64 v[54:55], v[24:25], s[38:39], v[48:49]
	v_fma_f64 v[26:27], v[24:25], s[36:37], v[48:49]
	v_add_f64 v[12:13], v[54:55], v[12:13]
	v_fma_f64 v[54:55], v[18:19], s[46:47], v[216:217]
	v_add_f64 v[14:15], v[26:27], v[14:15]
	;; [unrolled: 2-line block ×8, first 2 shown]
	v_fma_f64 v[14:15], v[194:195], s[28:29], -v[246:247]
	buffer_store_dword v0, off, s[60:63], 0 offset:796 ; 4-byte Folded Spill
	buffer_store_dword v1, off, s[60:63], 0 offset:800 ; 4-byte Folded Spill
	v_add_f64 v[12:13], v[12:13], v[74:75]
	v_mul_f64 v[74:75], v[244:245], s[20:21]
	v_add_f64 v[14:15], v[14:15], v[64:65]
	v_fma_f64 v[248:249], v[164:165], s[16:17], v[74:75]
	v_fma_f64 v[26:27], v[164:165], s[16:17], -v[74:75]
	v_add_f64 v[12:13], v[248:249], v[12:13]
	v_mul_f64 v[248:249], v[126:127], s[36:37]
	v_add_f64 v[14:15], v[26:27], v[14:15]
	v_fma_f64 v[250:251], v[124:125], s[30:31], v[248:249]
	v_fma_f64 v[26:27], v[124:125], s[30:31], -v[248:249]
	v_add_f64 v[12:13], v[250:251], v[12:13]
	v_mul_f64 v[250:251], v[130:131], s[58:59]
	v_add_f64 v[14:15], v[26:27], v[14:15]
	v_fma_f64 v[252:253], v[128:129], s[22:23], v[250:251]
	v_fma_f64 v[26:27], v[128:129], s[22:23], -v[250:251]
	v_add_f64 v[12:13], v[252:253], v[12:13]
	v_mul_f64 v[252:253], v[190:191], s[12:13]
	v_add_f64 v[14:15], v[26:27], v[14:15]
	v_fma_f64 v[254:255], v[178:179], s[4:5], v[252:253]
	v_fma_f64 v[26:27], v[178:179], s[4:5], -v[252:253]
	v_add_f64 v[12:13], v[254:255], v[12:13]
	v_mul_f64 v[254:255], v[180:181], s[54:55]
	v_add_f64 v[14:15], v[26:27], v[14:15]
	v_fma_f64 v[26:27], v[172:173], s[34:35], -v[254:255]
	v_fma_f64 v[54:55], v[172:173], s[34:35], v[254:255]
	v_mov_b32_e32 v254, v57
	v_add_f64 v[14:15], v[26:27], v[14:15]
	v_mul_f64 v[26:27], v[212:213], s[30:31]
	v_add_f64 v[12:13], v[54:55], v[12:13]
	v_fma_f64 v[32:33], v[238:239], s[36:37], v[26:27]
	v_fma_f64 v[26:27], v[238:239], s[38:39], v[26:27]
	v_add_f64 v[32:33], v[32:33], v[36:37]
	v_mul_f64 v[36:37], v[182:183], s[4:5]
	v_add_f64 v[26:27], v[26:27], v[34:35]
	v_fma_f64 v[54:55], v[240:241], s[12:13], v[36:37]
	v_fma_f64 v[34:35], v[240:241], s[42:43], v[36:37]
	;; [unrolled: 5-line block ×5, first 2 shown]
	v_add_f64 v[32:33], v[216:217], v[32:33]
	v_mul_f64 v[216:217], v[236:237], s[38:39]
	v_add_f64 v[26:27], v[34:35], v[26:27]
	v_mul_f64 v[34:35], v[214:215], s[16:17]
	v_fma_f64 v[232:233], v[194:195], s[30:31], v[216:217]
	v_fma_f64 v[36:37], v[204:205], s[20:21], v[34:35]
	;; [unrolled: 1-line block ×3, first 2 shown]
	v_add_f64 v[166:167], v[232:233], v[166:167]
	v_mul_f64 v[232:233], v[244:245], s[42:43]
	v_add_f64 v[26:27], v[36:37], v[26:27]
	v_fma_f64 v[36:37], v[194:195], s[30:31], -v[216:217]
	v_fma_f64 v[234:235], v[164:165], s[4:5], v[232:233]
	v_fma_f64 v[54:55], v[164:165], s[4:5], -v[232:233]
	v_add_f64 v[36:37], v[36:37], v[66:67]
	v_add_f64 v[166:167], v[234:235], v[166:167]
	v_mul_f64 v[234:235], v[126:127], s[18:19]
	v_add_f64 v[36:37], v[54:55], v[36:37]
	v_fma_f64 v[246:247], v[124:125], s[14:15], v[234:235]
	v_fma_f64 v[54:55], v[124:125], s[14:15], -v[234:235]
	v_add_f64 v[166:167], v[246:247], v[166:167]
	v_mul_f64 v[246:247], v[130:131], s[54:55]
	v_add_f64 v[36:37], v[54:55], v[36:37]
	v_fma_f64 v[248:249], v[128:129], s[34:35], v[246:247]
	v_fma_f64 v[54:55], v[128:129], s[34:35], -v[246:247]
	s_clause 0x1
	buffer_load_dword v247, off, s[60:63], 0 offset:12
	buffer_load_dword v246, off, s[60:63], 0
	v_add_f64 v[166:167], v[248:249], v[166:167]
	v_mul_f64 v[248:249], v[190:191], s[58:59]
	v_add_f64 v[36:37], v[54:55], v[36:37]
	v_fma_f64 v[54:55], v[178:179], s[22:23], -v[248:249]
	v_fma_f64 v[250:251], v[178:179], s[22:23], v[248:249]
	v_add_f64 v[36:37], v[54:55], v[36:37]
	v_mul_f64 v[54:55], v[212:213], s[34:35]
	v_add_f64 v[166:167], v[250:251], v[166:167]
	v_fma_f64 v[64:65], v[238:239], s[56:57], v[54:55]
	v_fma_f64 v[54:55], v[238:239], s[54:55], v[54:55]
	v_add_f64 v[40:41], v[64:65], v[40:41]
	v_mul_f64 v[64:65], v[182:183], s[28:29]
	v_add_f64 v[38:39], v[54:55], v[38:39]
	v_fma_f64 v[66:67], v[240:241], s[50:51], v[64:65]
	v_fma_f64 v[64:65], v[240:241], s[48:49], v[64:65]
	v_add_f64 v[40:41], v[66:67], v[40:41]
	v_mul_f64 v[66:67], v[236:237], s[54:55]
	v_add_f64 v[38:39], v[64:65], v[38:39]
	v_mul_f64 v[64:65], v[212:213], s[24:25]
	v_fma_f64 v[74:75], v[194:195], s[34:35], v[66:67]
	v_add_f64 v[28:29], v[28:29], v[64:65]
	v_mul_f64 v[64:65], v[182:183], s[34:35]
	v_add_f64 v[74:75], v[74:75], v[176:177]
	v_mul_f64 v[176:177], v[244:245], s[48:49]
	v_add_f64 v[28:29], v[28:29], v[192:193]
	v_add_f64 v[30:31], v[30:31], v[64:65]
	v_mul_f64 v[64:65], v[220:221], s[28:29]
	v_fma_f64 v[216:217], v[164:165], s[28:29], v[176:177]
	v_add_f64 v[28:29], v[30:31], v[28:29]
	v_mul_f64 v[30:31], v[194:195], s[24:25]
	v_add_f64 v[64:65], v[222:223], v[64:65]
	v_add_f64 v[74:75], v[216:217], v[74:75]
	s_clause 0x1
	buffer_load_dword v216, off, s[60:63], 0 offset:404
	buffer_load_dword v217, off, s[60:63], 0 offset:408
	v_add_f64 v[30:31], v[30:31], -v[218:219]
	v_add_f64 v[28:29], v[64:65], v[28:29]
	v_add_f64 v[30:31], v[30:31], v[198:199]
	s_waitcnt vmcnt(0)
	v_add_f64 v[106:107], v[106:107], v[216:217]
	s_clause 0x3
	buffer_load_dword v216, off, s[60:63], 0 offset:16
	buffer_load_dword v217, off, s[60:63], 0 offset:20
	;; [unrolled: 1-line block ×4, first 2 shown]
	s_waitcnt vmcnt(2)
	v_add_f64 v[104:105], v[104:105], v[216:217]
	s_waitcnt vmcnt(0)
	v_add_f64 v[54:55], v[106:107], v[54:55]
	s_clause 0x1
	buffer_load_dword v106, off, s[60:63], 0 offset:412
	buffer_load_dword v107, off, s[60:63], 0 offset:416
	v_mul_f64 v[216:217], v[228:229], s[14:15]
	v_add_f64 v[52:53], v[54:55], v[52:53]
	v_fma_f64 v[54:55], v[194:195], s[34:35], -v[66:67]
	v_fma_f64 v[232:233], v[18:19], s[40:41], v[216:217]
	v_fma_f64 v[18:19], v[18:19], s[18:19], v[216:217]
	v_mul_f64 v[66:67], v[212:213], s[22:23]
	v_add_f64 v[52:53], v[52:53], v[110:111]
	v_add_f64 v[54:55], v[54:55], v[72:73]
	v_mul_f64 v[72:73], v[194:195], s[22:23]
	v_add_f64 v[66:67], v[210:211], v[66:67]
	v_add_f64 v[52:53], v[52:53], v[122:123]
	v_add_f64 v[72:73], v[72:73], -v[208:209]
	v_add_f64 v[42:43], v[66:67], v[42:43]
	v_mul_f64 v[66:67], v[164:165], s[24:25]
	v_add_f64 v[52:53], v[52:53], v[174:175]
	v_add_f64 v[60:61], v[72:73], v[60:61]
	v_mul_f64 v[72:73], v[182:183], s[14:15]
	v_add_f64 v[66:67], v[66:67], -v[188:189]
	v_add_f64 v[52:53], v[52:53], v[206:207]
	v_add_f64 v[60:61], v[66:67], v[60:61]
	v_mul_f64 v[66:67], v[220:221], s[22:23]
	v_add_f64 v[52:53], v[52:53], v[162:163]
	s_waitcnt vmcnt(0)
	v_add_f64 v[104:105], v[104:105], v[106:107]
	v_mul_f64 v[106:107], v[220:221], s[16:17]
	v_add_f64 v[50:51], v[104:105], v[50:51]
	v_fma_f64 v[216:217], v[24:25], s[20:21], v[106:107]
	v_fma_f64 v[24:25], v[24:25], s[44:45], v[106:107]
	s_clause 0x1
	buffer_load_dword v106, off, s[60:63], 0 offset:476
	buffer_load_dword v107, off, s[60:63], 0 offset:480
	v_mul_f64 v[104:105], v[124:125], s[28:29]
	v_add_f64 v[50:51], v[50:51], v[108:109]
	s_clause 0x5
	buffer_load_dword v108, off, s[60:63], 0 offset:452
	buffer_load_dword v109, off, s[60:63], 0 offset:456
	;; [unrolled: 1-line block ×6, first 2 shown]
	v_add_f64 v[10:11], v[104:105], -v[10:11]
	v_mul_f64 v[104:105], v[212:213], s[4:5]
	v_add_f64 v[24:25], v[24:25], v[38:39]
	v_fma_f64 v[38:39], v[164:165], s[28:29], -v[176:177]
	v_add_f64 v[50:51], v[50:51], v[120:121]
	v_add_f64 v[18:19], v[18:19], v[24:25]
	;; [unrolled: 1-line block ×3, first 2 shown]
	v_mul_f64 v[54:55], v[228:229], s[4:5]
	v_mul_f64 v[24:25], v[224:225], s[16:17]
	v_add_f64 v[50:51], v[50:51], v[168:169]
	v_add_f64 v[54:55], v[226:227], v[54:55]
	;; [unrolled: 1-line block ×5, first 2 shown]
	v_mul_f64 v[28:29], v[224:225], s[28:29]
	v_add_f64 v[50:51], v[50:51], v[132:133]
	v_add_f64 v[4:5], v[4:5], v[24:25]
	v_mul_f64 v[24:25], v[214:215], s[14:15]
	v_add_f64 v[50:51], v[50:51], v[112:113]
	v_mul_f64 v[112:113], v[170:171], s[26:27]
	v_add_f64 v[44:45], v[50:51], v[44:45]
	s_waitcnt vmcnt(6)
	v_add_f64 v[104:105], v[106:107], v[104:105]
	v_mul_f64 v[106:107], v[164:165], s[34:35]
	s_waitcnt vmcnt(2)
	v_add_f64 v[72:73], v[110:111], v[72:73]
	v_add_f64 v[62:63], v[104:105], v[62:63]
	v_add_f64 v[8:9], v[106:107], -v[8:9]
	v_mul_f64 v[106:107], v[194:195], s[4:5]
	v_mul_f64 v[104:105], v[164:165], s[14:15]
	;; [unrolled: 1-line block ×3, first 2 shown]
	v_add_f64 v[62:63], v[72:73], v[62:63]
	v_add_f64 v[8:9], v[8:9], v[30:31]
	v_add_f64 v[106:107], v[106:107], -v[108:109]
	v_mul_f64 v[108:109], v[182:183], s[24:25]
	s_waitcnt vmcnt(0)
	v_add_f64 v[104:105], v[104:105], -v[0:1]
	v_add_f64 v[30:31], v[52:53], v[114:115]
	v_mul_f64 v[52:53], v[220:221], s[34:35]
	v_mul_f64 v[72:73], v[126:127], s[44:45]
	v_add_f64 v[8:9], v[10:11], v[8:9]
	v_add_f64 v[106:107], v[106:107], v[116:117]
	;; [unrolled: 1-line block ×4, first 2 shown]
	v_mul_f64 v[46:47], v[228:229], s[30:31]
	v_add_f64 v[52:53], v[160:161], v[52:53]
	v_add_f64 v[104:105], v[104:105], v[106:107]
	;; [unrolled: 1-line block ×3, first 2 shown]
	v_mul_f64 v[108:109], v[124:125], s[34:35]
	v_add_f64 v[22:23], v[22:23], v[46:47]
	v_mul_f64 v[46:47], v[128:129], s[30:31]
	v_add_f64 v[42:43], v[52:53], v[42:43]
	v_add_f64 v[16:17], v[108:109], -v[16:17]
	s_clause 0x3
	buffer_load_dword v108, off, s[60:63], 0 offset:500
	buffer_load_dword v109, off, s[60:63], 0 offset:504
	;; [unrolled: 1-line block ×4, first 2 shown]
	v_mul_f64 v[52:53], v[128:129], s[28:29]
	v_add_f64 v[22:23], v[22:23], v[42:43]
	v_add_f64 v[16:17], v[16:17], v[60:61]
	v_mul_f64 v[42:43], v[178:179], s[28:29]
	s_waitcnt vmcnt(2)
	v_add_f64 v[66:67], v[108:109], v[66:67]
	s_waitcnt vmcnt(0)
	v_add_f64 v[110:111], v[110:111], -v[0:1]
	s_clause 0x5
	buffer_load_dword v0, off, s[60:63], 0 offset:588
	buffer_load_dword v1, off, s[60:63], 0 offset:592
	;; [unrolled: 1-line block ×6, first 2 shown]
	v_fma_f64 v[108:109], v[124:125], s[16:17], v[72:73]
	v_fma_f64 v[72:73], v[124:125], s[16:17], -v[72:73]
	v_add_f64 v[124:125], v[34:35], v[32:33]
	v_add_f64 v[64:65], v[108:109], v[74:75]
	;; [unrolled: 1-line block ×4, first 2 shown]
	v_mul_f64 v[40:41], v[130:131], s[18:19]
	s_waitcnt vmcnt(4)
	v_add_f64 v[2:3], v[46:47], -v[0:1]
	s_clause 0x1
	buffer_load_dword v0, off, s[60:63], 0 offset:724
	buffer_load_dword v1, off, s[60:63], 0 offset:728
	s_waitcnt vmcnt(2)
	v_add_f64 v[52:53], v[52:53], -v[60:61]
	v_add_f64 v[60:61], v[110:111], v[104:105]
	v_mul_f64 v[46:47], v[228:229], s[28:29]
	v_mul_f64 v[104:105], v[202:203], s[4:5]
	v_add_f64 v[2:3], v[2:3], v[16:17]
	v_mul_f64 v[16:17], v[224:225], s[24:25]
	v_add_f64 v[52:53], v[52:53], v[60:61]
	;; [unrolled: 2-line block ×3, first 2 shown]
	v_add_f64 v[50:51], v[66:67], v[62:63]
	v_mul_f64 v[62:63], v[128:129], s[4:5]
	v_mul_f64 v[66:67], v[224:225], s[30:31]
	v_fma_f64 v[116:117], v[134:135], s[42:43], v[104:105]
	v_fma_f64 v[104:105], v[134:135], s[12:13], v[104:105]
	v_add_f64 v[46:47], v[46:47], v[50:51]
	v_mul_f64 v[50:51], v[178:179], s[24:25]
	v_add_f64 v[6:7], v[62:63], -v[6:7]
	v_fma_f64 v[62:63], v[128:129], s[14:15], -v[40:41]
	v_fma_f64 v[72:73], v[230:231], s[38:39], v[66:67]
	v_fma_f64 v[66:67], v[230:231], s[36:37], v[66:67]
	;; [unrolled: 1-line block ×3, first 2 shown]
	v_add_f64 v[6:7], v[6:7], v[8:9]
	v_add_f64 v[8:9], v[62:63], v[10:11]
	;; [unrolled: 1-line block ×3, first 2 shown]
	v_mul_f64 v[38:39], v[190:191], s[36:37]
	v_add_f64 v[18:19], v[66:67], v[18:19]
	v_add_f64 v[40:41], v[40:41], v[64:65]
	v_mul_f64 v[62:63], v[180:181], s[52:53]
	v_add_f64 v[10:11], v[72:73], v[10:11]
	v_fma_f64 v[66:67], v[172:173], s[24:25], -v[62:63]
	v_fma_f64 v[62:63], v[172:173], s[24:25], v[62:63]
	s_waitcnt vmcnt(0)
	v_add_f64 v[30:31], v[30:31], v[0:1]
	s_clause 0x1
	buffer_load_dword v0, off, s[60:63], 0 offset:764
	buffer_load_dword v1, off, s[60:63], 0 offset:768
	s_waitcnt vmcnt(0)
	v_add_f64 v[44:45], v[44:45], v[0:1]
	s_clause 0x3
	buffer_load_dword v0, off, s[60:63], 0 offset:772
	buffer_load_dword v1, off, s[60:63], 0 offset:776
	;; [unrolled: 1-line block ×4, first 2 shown]
	s_waitcnt vmcnt(2)
	v_add_f64 v[28:29], v[0:1], v[28:29]
	s_waitcnt vmcnt(0)
	v_add_f64 v[42:43], v[42:43], -v[54:55]
	s_clause 0x1
	buffer_load_dword v54, off, s[60:63], 0 offset:524
	buffer_load_dword v55, off, s[60:63], 0 offset:528
	v_add_f64 v[22:23], v[28:29], v[22:23]
	v_mul_f64 v[28:29], v[172:173], s[14:15]
	v_add_f64 v[2:3], v[42:43], v[2:3]
	v_mul_f64 v[42:43], v[214:215], s[30:31]
	s_waitcnt vmcnt(0)
	v_add_f64 v[16:17], v[54:55], v[16:17]
	s_clause 0x3
	buffer_load_dword v54, off, s[60:63], 0 offset:460
	buffer_load_dword v55, off, s[60:63], 0 offset:464
	;; [unrolled: 1-line block ×4, first 2 shown]
	v_add_f64 v[16:17], v[16:17], v[46:47]
	v_mul_f64 v[46:47], v[172:173], s[30:31]
	s_waitcnt vmcnt(2)
	v_add_f64 v[50:51], v[50:51], -v[54:55]
	s_waitcnt vmcnt(0)
	v_add_f64 v[30:31], v[30:31], v[0:1]
	s_clause 0x1
	buffer_load_dword v0, off, s[60:63], 0 offset:692
	buffer_load_dword v1, off, s[60:63], 0 offset:696
	v_mul_f64 v[54:55], v[178:179], s[16:17]
	v_add_f64 v[50:51], v[50:51], v[52:53]
	v_mul_f64 v[52:53], v[172:173], s[22:23]
	v_add_f64 v[20:21], v[54:55], -v[20:21]
	v_fma_f64 v[54:55], v[178:179], s[30:31], -v[38:39]
	v_fma_f64 v[38:39], v[178:179], s[30:31], v[38:39]
	v_add_f64 v[6:7], v[20:21], v[6:7]
	v_mul_f64 v[20:21], v[214:215], s[24:25]
	v_add_f64 v[8:9], v[54:55], v[8:9]
	v_add_f64 v[38:39], v[38:39], v[40:41]
	v_mul_f64 v[40:41], v[202:203], s[30:31]
	v_fma_f64 v[54:55], v[204:205], s[52:53], v[20:21]
	v_add_f64 v[8:9], v[66:67], v[8:9]
	v_fma_f64 v[20:21], v[204:205], s[26:27], v[20:21]
	v_add_f64 v[62:63], v[62:63], v[38:39]
	v_add_f64 v[18:19], v[54:55], v[18:19]
	;; [unrolled: 1-line block ×5, first 2 shown]
	s_waitcnt vmcnt(0)
	v_add_f64 v[44:45], v[44:45], v[0:1]
	s_clause 0x1
	buffer_load_dword v0, off, s[60:63], 0 offset:740
	buffer_load_dword v1, off, s[60:63], 0 offset:744
	s_waitcnt vmcnt(0)
	v_add_f64 v[0:1], v[0:1], v[60:61]
	s_clause 0x1
	buffer_load_dword v60, off, s[60:63], 0 offset:564
	buffer_load_dword v61, off, s[60:63], 0 offset:568
	v_add_f64 v[0:1], v[0:1], v[4:5]
	v_mul_f64 v[4:5], v[202:203], s[16:17]
	s_waitcnt vmcnt(0)
	v_add_f64 v[24:25], v[60:61], v[24:25]
	s_clause 0x1
	buffer_load_dword v60, off, s[60:63], 0 offset:556
	buffer_load_dword v61, off, s[60:63], 0 offset:560
	v_add_f64 v[24:25], v[24:25], v[22:23]
	v_mul_f64 v[22:23], v[202:203], s[34:35]
	s_waitcnt vmcnt(0)
	v_add_f64 v[28:29], v[28:29], -v[60:61]
	s_clause 0x1
	buffer_load_dword v60, off, s[60:63], 0 offset:516
	buffer_load_dword v61, off, s[60:63], 0 offset:520
	v_add_f64 v[28:29], v[28:29], v[2:3]
	v_mul_f64 v[2:3], v[202:203], s[14:15]
	v_fma_f64 v[114:115], v[134:135], s[40:41], v[2:3]
	s_waitcnt vmcnt(0)
	v_add_f64 v[42:43], v[60:61], v[42:43]
	s_clause 0x1
	buffer_load_dword v60, off, s[60:63], 0 offset:468
	buffer_load_dword v61, off, s[60:63], 0 offset:472
	v_add_f64 v[16:17], v[42:43], v[16:17]
	v_mul_f64 v[42:43], v[118:119], s[30:31]
	s_waitcnt vmcnt(0)
	v_add_f64 v[46:47], v[46:47], -v[60:61]
	s_clause 0x1
	buffer_load_dword v60, off, s[60:63], 0 offset:708
	buffer_load_dword v61, off, s[60:63], 0 offset:712
	v_add_f64 v[46:47], v[46:47], v[50:51]
	s_waitcnt vmcnt(0)
	v_add_f64 v[30:31], v[30:31], v[60:61]
	s_clause 0x1
	buffer_load_dword v60, off, s[60:63], 0 offset:700
	buffer_load_dword v61, off, s[60:63], 0 offset:704
	s_waitcnt vmcnt(0)
	v_add_f64 v[44:45], v[44:45], v[60:61]
	s_clause 0x3
	buffer_load_dword v60, off, s[60:63], 0 offset:580
	buffer_load_dword v61, off, s[60:63], 0 offset:584
	;; [unrolled: 1-line block ×4, first 2 shown]
	s_waitcnt vmcnt(2)
	v_add_f64 v[52:53], v[52:53], -v[60:61]
	s_waitcnt vmcnt(0)
	v_add_f64 v[40:41], v[54:55], v[40:41]
	s_clause 0xb
	buffer_load_dword v54, off, s[60:63], 0 offset:548
	buffer_load_dword v55, off, s[60:63], 0 offset:552
	;; [unrolled: 1-line block ×12, first 2 shown]
	v_mul_f64 v[60:61], v[180:181], s[20:21]
	v_add_f64 v[52:53], v[52:53], v[6:7]
	v_add_f64 v[6:7], v[114:115], v[48:49]
	v_fma_f64 v[64:65], v[172:173], s[16:17], v[60:61]
	v_fma_f64 v[60:61], v[172:173], s[16:17], -v[60:61]
	v_add_f64 v[64:65], v[64:65], v[166:167]
	v_add_f64 v[36:37], v[60:61], v[36:37]
	v_fma_f64 v[60:61], v[118:119], s[24:25], -v[112:113]
	v_fma_f64 v[112:113], v[118:119], s[24:25], v[112:113]
	s_waitcnt vmcnt(10)
	v_add_f64 v[4:5], v[54:55], v[4:5]
	v_mul_f64 v[54:55], v[118:119], s[16:17]
	s_waitcnt vmcnt(6)
	v_add_f64 v[74:75], v[74:75], v[22:23]
	v_mul_f64 v[22:23], v[202:203], s[24:25]
	s_waitcnt vmcnt(2)
	v_add_f64 v[108:109], v[30:31], v[108:109]
	s_waitcnt vmcnt(0)
	v_add_f64 v[44:45], v[44:45], v[110:111]
	v_mul_f64 v[110:111], v[170:171], s[42:43]
	v_mul_f64 v[30:31], v[170:171], s[40:41]
	v_add_f64 v[54:55], v[54:55], -v[72:73]
	v_mul_f64 v[72:73], v[118:119], s[34:35]
	v_fma_f64 v[50:51], v[134:135], s[26:27], v[22:23]
	v_fma_f64 v[122:123], v[134:135], s[52:53], v[22:23]
	v_add_f64 v[22:23], v[40:41], v[0:1]
	v_fma_f64 v[66:67], v[118:119], s[4:5], -v[110:111]
	v_fma_f64 v[120:121], v[118:119], s[14:15], -v[30:31]
	v_fma_f64 v[110:111], v[118:119], s[4:5], v[110:111]
	v_add_f64 v[72:73], v[72:73], -v[106:107]
	v_fma_f64 v[106:107], v[134:135], s[18:19], v[2:3]
	s_clause 0x1
	buffer_load_dword v2, off, s[60:63], 0 offset:644
	buffer_load_dword v3, off, s[60:63], 0 offset:648
	v_add_f64 v[10:11], v[50:51], v[26:27]
	v_add_f64 v[26:27], v[4:5], v[24:25]
	;; [unrolled: 1-line block ×6, first 2 shown]
	s_waitcnt vmcnt(0)
	v_add_f64 v[42:43], v[42:43], -v[2:3]
	s_clause 0x3
	buffer_load_dword v2, off, s[60:63], 0 offset:796
	buffer_load_dword v3, off, s[60:63], 0 offset:800
	buffer_load_dword v0, off, s[60:63], 0 offset:612
	buffer_load_dword v1, off, s[60:63], 0 offset:616
	v_add_f64 v[20:21], v[42:43], v[52:53]
	s_waitcnt vmcnt(2)
	v_add_f64 v[2:3], v[106:107], v[2:3]
	s_waitcnt vmcnt(0)
	v_add_f64 v[34:35], v[108:109], v[0:1]
	s_clause 0x1
	buffer_load_dword v0, off, s[60:63], 0 offset:620
	buffer_load_dword v1, off, s[60:63], 0 offset:624
	v_fma_f64 v[106:107], v[118:119], s[14:15], v[30:31]
	v_add_f64 v[30:31], v[74:75], v[16:17]
	v_add_f64 v[16:17], v[66:67], v[8:9]
	v_add_f64 v[8:9], v[60:61], v[36:37]
	buffer_load_dword v37, off, s[60:63], 0 offset:264 ; 4-byte Folded Reload
	s_waitcnt vmcnt(1)
	v_add_f64 v[32:33], v[44:45], v[0:1]
	v_lshrrev_b32_e32 v0, 1, v246
	v_mul_u32_u24_e32 v36, 34, v0
	v_add_f64 v[0:1], v[106:107], v[12:13]
	v_add_f64 v[12:13], v[112:113], v[64:65]
	s_waitcnt vmcnt(0)
	v_or_b32_e32 v40, v36, v37
	v_add_f64 v[36:37], v[110:111], v[62:63]
	v_lshl_add_u32 v40, v40, 4, v247
	ds_write_b128 v40, v[32:35]
	ds_write_b128 v40, v[28:31] offset:32
	ds_write_b128 v40, v[24:27] offset:64
	ds_write_b128 v40, v[20:23] offset:96
	ds_write_b128 v40, v[16:19] offset:128
	ds_write_b128 v40, v[8:11] offset:160
	ds_write_b128 v40, v[4:7] offset:192
	s_clause 0x3
	buffer_load_dword v4, off, s[60:63], 0 offset:748
	buffer_load_dword v5, off, s[60:63], 0 offset:752
	buffer_load_dword v6, off, s[60:63], 0 offset:756
	buffer_load_dword v7, off, s[60:63], 0 offset:760
	s_waitcnt vmcnt(0)
	ds_write_b128 v40, v[4:7] offset:224
	s_clause 0x3
	buffer_load_dword v4, off, s[60:63], 0 offset:628
	buffer_load_dword v5, off, s[60:63], 0 offset:632
	buffer_load_dword v6, off, s[60:63], 0 offset:636
	buffer_load_dword v7, off, s[60:63], 0 offset:640
	s_waitcnt vmcnt(0)
	ds_write_b128 v40, v[4:7] offset:256
	;; [unrolled: 7-line block ×4, first 2 shown]
	ds_write_b128 v40, v[0:3] offset:352
	ds_write_b128 v40, v[12:15] offset:384
	;; [unrolled: 1-line block ×6, first 2 shown]
.LBB0_11:
	s_or_b32 exec_lo, exec_lo, s1
	s_waitcnt lgkmcnt(0)
	s_waitcnt_vscnt null, 0x0
	s_barrier
	buffer_gl0_inv
	ds_read_b128 v[0:3], v68
	ds_read_b128 v[4:7], v68 offset:1088
	ds_read_b128 v[36:39], v68 offset:9248
	;; [unrolled: 1-line block ×13, first 2 shown]
	v_lshlrev_b32_e32 v48, 1, v246
	s_and_saveexec_b32 s1, vcc_lo
	s_cbranch_execz .LBB0_13
; %bb.12:
	ds_read_b128 v[140:143], v68 offset:7616
	ds_read_b128 v[148:151], v68 offset:15776
.LBB0_13:
	s_or_b32 exec_lo, exec_lo, s1
	v_add_co_u32 v44, s1, 0xffffffde, v246
	v_add_co_ci_u32_e64 v45, null, 0, -1, s1
	v_and_b32_e32 v47, 0xff, v254
	v_cndmask_b32_e32 v44, v44, v246, vcc_lo
	v_mov_b32_e32 v64, 4
	v_cndmask_b32_e64 v45, v45, 0, vcc_lo
	v_mov_b32_e32 v75, 0xf0f1
	v_mul_lo_u16 v47, 0xf1, v47
	v_lshlrev_b64 v[45:46], 4, v[44:45]
	v_mul_u32_u24_sdwa v50, v56, v75 dst_sel:DWORD dst_unused:UNUSED_PAD src0_sel:WORD_0 src1_sel:DWORD
	v_lshrrev_b16 v57, 13, v47
	v_and_b32_e32 v47, 0xff, v69
	v_lshrrev_b32_e32 v172, 21, v50
	v_add_co_u32 v45, s1, s2, v45
	v_add_co_ci_u32_e64 v46, s1, s3, v46, s1
	v_cmp_lt_u16_e64 s1, 33, v246
	global_load_dwordx4 v[104:107], v[45:46], off offset:512
	v_mul_lo_u16 v45, v57, 34
	v_mul_lo_u16 v46, 0xf1, v47
	v_sub_nc_u16 v72, v254, v45
	v_lshrrev_b16 v73, 13, v46
	v_mul_u32_u24_sdwa v46, v243, v75 dst_sel:DWORD dst_unused:UNUSED_PAD src0_sel:WORD_0 src1_sel:DWORD
	v_lshlrev_b32_sdwa v45, v64, v72 dst_sel:DWORD dst_unused:UNUSED_PAD src0_sel:DWORD src1_sel:BYTE_0
	v_lshrrev_b32_e32 v132, 21, v46
	global_load_dwordx4 v[108:111], v45, s[2:3] offset:512
	v_mul_lo_u16 v45, v73, 34
	v_sub_nc_u16 v74, v69, v45
	v_lshlrev_b32_sdwa v45, v64, v74 dst_sel:DWORD dst_unused:UNUSED_PAD src0_sel:DWORD src1_sel:BYTE_0
	global_load_dwordx4 v[112:115], v45, s[2:3] offset:512
	v_mul_lo_u16 v45, v132, 34
	v_sub_nc_u16 v133, v243, v45
	v_mul_u32_u24_sdwa v45, v242, v75 dst_sel:DWORD dst_unused:UNUSED_PAD src0_sel:WORD_0 src1_sel:DWORD
	v_lshlrev_b32_sdwa v49, v64, v133 dst_sel:DWORD dst_unused:UNUSED_PAD src0_sel:DWORD src1_sel:WORD_0
	v_lshrrev_b32_e32 v134, 21, v45
	global_load_dwordx4 v[116:119], v49, s[2:3] offset:512
	v_mul_lo_u16 v49, v134, 34
	v_sub_nc_u16 v135, v242, v49
	v_lshlrev_b32_sdwa v49, v64, v135 dst_sel:DWORD dst_unused:UNUSED_PAD src0_sel:DWORD src1_sel:WORD_0
	global_load_dwordx4 v[124:127], v49, s[2:3] offset:512
	v_mul_lo_u16 v49, v172, 34
	v_sub_nc_u16 v173, v56, v49
	v_lshlrev_b32_sdwa v49, v64, v173 dst_sel:DWORD dst_unused:UNUSED_PAD src0_sel:DWORD src1_sel:WORD_0
	global_load_dwordx4 v[120:123], v49, s[2:3] offset:512
	s_waitcnt vmcnt(5) lgkmcnt(3)
	v_mul_f64 v[49:50], v[42:43], v[106:107]
	v_mul_f64 v[51:52], v[40:41], v[106:107]
	v_fma_f64 v[40:41], v[40:41], v[104:105], -v[49:50]
	s_waitcnt vmcnt(4)
	v_mul_f64 v[49:50], v[38:39], v[110:111]
	v_fma_f64 v[42:43], v[42:43], v[104:105], v[51:52]
	v_mul_f64 v[51:52], v[36:37], v[110:111]
	v_fma_f64 v[36:37], v[36:37], v[108:109], -v[49:50]
	s_waitcnt vmcnt(3)
	v_mul_f64 v[49:50], v[34:35], v[114:115]
	v_fma_f64 v[38:39], v[38:39], v[108:109], v[51:52]
	;; [unrolled: 5-line block ×4, first 2 shown]
	v_mul_f64 v[26:27], v[20:21], v[126:127]
	v_fma_f64 v[53:54], v[20:21], v[124:125], -v[24:25]
	s_waitcnt vmcnt(0) lgkmcnt(1)
	v_mul_f64 v[20:21], v[30:31], v[122:123]
	v_fma_f64 v[55:56], v[22:23], v[124:125], v[26:27]
	v_mul_f64 v[22:23], v[28:29], v[122:123]
	v_add_f64 v[24:25], v[12:13], -v[32:33]
	v_add_f64 v[26:27], v[14:15], -v[34:35]
	;; [unrolled: 1-line block ×3, first 2 shown]
	v_fma_f64 v[60:61], v[28:29], v[120:121], -v[20:21]
	v_mul_u32_u24_sdwa v20, v59, v75 dst_sel:DWORD dst_unused:UNUSED_PAD src0_sel:WORD_0 src1_sel:DWORD
	v_fma_f64 v[62:63], v[30:31], v[120:121], v[22:23]
	v_add_f64 v[28:29], v[8:9], -v[49:50]
	v_add_f64 v[30:31], v[10:11], -v[51:52]
	;; [unrolled: 1-line block ×3, first 2 shown]
	v_lshrrev_b32_e32 v22, 21, v20
	v_fma_f64 v[12:13], v[12:13], 2.0, -v[24:25]
	v_fma_f64 v[14:15], v[14:15], 2.0, -v[26:27]
	v_mul_lo_u16 v20, v22, 34
	v_sub_nc_u16 v23, v59, v20
	v_lshlrev_b32_sdwa v20, v64, v23 dst_sel:DWORD dst_unused:UNUSED_PAD src0_sel:DWORD src1_sel:WORD_0
	v_fma_f64 v[8:9], v[8:9], 2.0, -v[28:29]
	global_load_dwordx4 v[128:131], v20, s[2:3] offset:512
	v_fma_f64 v[10:11], v[10:11], 2.0, -v[30:31]
	v_fma_f64 v[51:52], v[166:167], 2.0, -v[34:35]
	s_waitcnt vmcnt(0) lgkmcnt(0)
	v_mul_f64 v[20:21], v[18:19], v[130:131]
	v_fma_f64 v[64:65], v[16:17], v[128:129], -v[20:21]
	v_mul_f64 v[16:17], v[16:17], v[130:131]
	v_add_f64 v[20:21], v[4:5], -v[36:37]
	v_add_f64 v[36:37], v[160:161], -v[60:61]
	v_fma_f64 v[66:67], v[18:19], v[128:129], v[16:17]
	v_mul_u32_u24_sdwa v16, v58, v75 dst_sel:DWORD dst_unused:UNUSED_PAD src0_sel:WORD_0 src1_sel:DWORD
	v_cndmask_b32_e64 v17, 0, 0x44, s1
	v_fma_f64 v[4:5], v[4:5], 2.0, -v[20:21]
	v_mad_u16 v75, 0x44, v134, v135
	v_fma_f64 v[53:54], v[160:161], 2.0, -v[36:37]
	v_lshrrev_b32_e32 v16, 21, v16
	v_add_nc_u32_e32 v44, v44, v17
	v_mov_b32_e32 v17, 0x44
	v_and_b32_e32 v61, 0xffff, v75
	v_mul_lo_u16 v16, v16, 34
	v_sub_nc_u16 v16, v58, v16
	v_and_b32_e32 v18, 0xffff, v16
	v_mul_u32_u24_sdwa v16, v57, v17 dst_sel:DWORD dst_unused:UNUSED_PAD src0_sel:WORD_0 src1_sel:DWORD
	v_mul_u32_u24_sdwa v17, v73, v17 dst_sel:DWORD dst_unused:UNUSED_PAD src0_sel:WORD_0 src1_sel:DWORD
	buffer_store_dword v18, off, s[60:63], 0 offset:404 ; 4-byte Folded Spill
	v_lshlrev_b32_e32 v18, 4, v18
	v_add_nc_u32_sdwa v72, v16, v72 dst_sel:DWORD dst_unused:UNUSED_PAD src0_sel:DWORD src1_sel:BYTE_0
	v_add_nc_u32_sdwa v73, v17, v74 dst_sel:DWORD dst_unused:UNUSED_PAD src0_sel:DWORD src1_sel:BYTE_0
	v_mad_u16 v74, 0x44, v132, v133
	v_mad_u16 v133, 0x44, v22, v23
	global_load_dwordx4 v[174:177], v18, s[2:3] offset:512
	v_add_f64 v[16:17], v[0:1], -v[40:41]
	v_add_f64 v[18:19], v[2:3], -v[42:43]
	v_add_f64 v[22:23], v[6:7], -v[38:39]
	v_add_f64 v[38:39], v[162:163], -v[62:63]
	v_add_f64 v[40:41], v[168:169], -v[64:65]
	v_add_f64 v[42:43], v[170:171], -v[66:67]
	v_mad_u16 v132, 0x44, v172, v173
	v_and_b32_e32 v63, 0xffff, v133
	v_lshl_add_u32 v64, v44, 4, v247
	v_and_b32_e32 v44, 0xffff, v74
	v_lshl_add_u32 v66, v72, 4, v247
	;; [unrolled: 2-line block ×3, first 2 shown]
	v_fma_f64 v[0:1], v[0:1], 2.0, -v[16:17]
	v_fma_f64 v[2:3], v[2:3], 2.0, -v[18:19]
	;; [unrolled: 1-line block ×6, first 2 shown]
	s_waitcnt vmcnt(0)
	v_mul_f64 v[57:58], v[150:151], v[176:177]
	v_mul_f64 v[49:50], v[148:149], v[176:177]
	v_fma_f64 v[57:58], v[148:149], v[174:175], -v[57:58]
	buffer_store_dword v174, off, s[60:63], 0 offset:500 ; 4-byte Folded Spill
	buffer_store_dword v175, off, s[60:63], 0 offset:504 ; 4-byte Folded Spill
	;; [unrolled: 1-line block ×4, first 2 shown]
	s_waitcnt_vscnt null, 0x0
	s_barrier
	buffer_gl0_inv
	ds_write_b128 v64, v[16:19] offset:544
	buffer_store_dword v64, off, s[60:63], 0 offset:412 ; 4-byte Folded Spill
	ds_write_b128 v64, v[0:3]
	ds_write_b128 v66, v[20:23] offset:544
	buffer_store_dword v66, off, s[60:63], 0 offset:428 ; 4-byte Folded Spill
	ds_write_b128 v66, v[4:7]
	ds_write_b128 v65, v[12:15]
	buffer_store_dword v65, off, s[60:63], 0 offset:420 ; 4-byte Folded Spill
	v_add_f64 v[236:237], v[140:141], -v[57:58]
	v_lshl_add_u32 v57, v61, 4, v247
	v_lshl_add_u32 v58, v63, 4, v247
	v_fma_f64 v[59:60], v[150:151], v[174:175], v[49:50]
	v_fma_f64 v[49:50], v[164:165], 2.0, -v[32:33]
	v_add_f64 v[238:239], v[142:143], -v[59:60]
	v_lshl_add_u32 v59, v44, 4, v247
	v_lshl_add_u32 v44, v62, 4, v247
	ds_write_b128 v65, v[24:27] offset:544
	ds_write_b128 v59, v[8:11]
	buffer_store_dword v59, off, s[60:63], 0 offset:460 ; 4-byte Folded Spill
	ds_write_b128 v59, v[28:31] offset:544
	ds_write_b128 v57, v[49:52]
	buffer_store_dword v57, off, s[60:63], 0 offset:444 ; 4-byte Folded Spill
	;; [unrolled: 3-line block ×4, first 2 shown]
	ds_write_b128 v58, v[40:43] offset:544
	s_and_saveexec_b32 s1, vcc_lo
	s_cbranch_execz .LBB0_15
; %bb.14:
	buffer_load_dword v4, off, s[60:63], 0 offset:404 ; 4-byte Folded Reload
	v_fma_f64 v[2:3], v[142:143], 2.0, -v[238:239]
	v_fma_f64 v[0:1], v[140:141], 2.0, -v[236:237]
	s_waitcnt vmcnt(0)
	v_lshl_add_u32 v4, v4, 4, v247
	ds_write_b128 v4, v[0:3] offset:15232
	ds_write_b128 v4, v[236:239] offset:15776
.LBB0_15:
	s_or_b32 exec_lo, exec_lo, s1
	v_lshlrev_b32_e32 v24, 4, v48
	s_waitcnt lgkmcnt(0)
	s_waitcnt_vscnt null, 0x0
	s_barrier
	buffer_gl0_inv
	ds_read_b128 v[16:19], v68
	ds_read_b128 v[20:23], v68 offset:5440
	ds_read_b128 v[34:37], v68 offset:10880
	;; [unrolled: 1-line block ×14, first 2 shown]
	s_clause 0x1
	global_load_dwordx4 v[140:143], v24, s[2:3] offset:1072
	global_load_dwordx4 v[148:151], v24, s[2:3] offset:1056
	s_mov_b32 s4, 0xe8584caa
	s_mov_b32 s5, 0x3febb67a
	;; [unrolled: 1-line block ×6, first 2 shown]
	s_waitcnt vmcnt(1) lgkmcnt(9)
	v_mul_f64 v[28:29], v[49:50], v[142:143]
	s_waitcnt vmcnt(0)
	v_mul_f64 v[24:25], v[22:23], v[150:151]
	v_fma_f64 v[28:29], v[51:52], v[140:141], v[28:29]
	v_fma_f64 v[26:27], v[20:21], v[148:149], -v[24:25]
	v_mul_f64 v[20:21], v[20:21], v[150:151]
	v_mul_f64 v[24:25], v[51:52], v[142:143]
	v_fma_f64 v[30:31], v[22:23], v[148:149], v[20:21]
	v_mul_f64 v[20:21], v[36:37], v[142:143]
	v_fma_f64 v[24:25], v[49:50], v[140:141], -v[24:25]
	v_mul_f64 v[22:23], v[38:39], v[150:151]
	v_fma_f64 v[32:33], v[34:35], v[140:141], -v[20:21]
	v_mul_f64 v[20:21], v[34:35], v[142:143]
	v_fma_f64 v[22:23], v[40:41], v[148:149], v[22:23]
	v_fma_f64 v[34:35], v[36:37], v[140:141], v[20:21]
	v_mul_lo_u16 v36, 0x79, v47
	v_mul_f64 v[20:21], v[40:41], v[150:151]
	v_lshrrev_b16 v36, 13, v36
	v_mul_lo_u16 v36, 0x44, v36
	v_sub_nc_u16 v36, v69, v36
	v_and_b32_e32 v67, 0xff, v36
	v_add_f64 v[40:41], v[30:31], -v[34:35]
	v_fma_f64 v[20:21], v[38:39], v[148:149], -v[20:21]
	v_add_f64 v[38:39], v[26:27], v[32:33]
	v_lshlrev_b32_e32 v36, 5, v67
	s_clause 0x1
	global_load_dwordx4 v[160:163], v36, s[2:3] offset:1072
	global_load_dwordx4 v[164:167], v36, s[2:3] offset:1056
	v_fma_f64 v[38:39], v[38:39], -0.5, v[16:17]
	s_waitcnt vmcnt(0) lgkmcnt(7)
	v_mul_f64 v[36:37], v[55:56], v[166:167]
	v_fma_f64 v[47:48], v[53:54], v[164:165], -v[36:37]
	v_mul_f64 v[36:37], v[53:54], v[166:167]
	v_fma_f64 v[49:50], v[55:56], v[164:165], v[36:37]
	s_waitcnt lgkmcnt(6)
	v_mul_f64 v[36:37], v[134:135], v[162:163]
	v_fma_f64 v[51:52], v[132:133], v[160:161], -v[36:37]
	v_mul_f64 v[36:37], v[132:133], v[162:163]
	v_fma_f64 v[53:54], v[134:135], v[160:161], v[36:37]
	v_lshrrev_b32_e32 v36, 22, v46
	v_mul_lo_u16 v36, 0x44, v36
	v_sub_nc_u16 v196, v243, v36
	v_lshlrev_b16 v36, 5, v196
	v_and_b32_e32 v36, 0xffff, v36
	v_add_co_u32 v36, s1, s2, v36
	v_add_co_ci_u32_e64 v37, null, s3, 0, s1
	s_clause 0x1
	global_load_dwordx4 v[168:171], v[36:37], off offset:1072
	global_load_dwordx4 v[172:175], v[36:37], off offset:1056
	s_waitcnt vmcnt(0) lgkmcnt(4)
	v_mul_f64 v[36:37], v[178:179], v[174:175]
	v_fma_f64 v[55:56], v[176:177], v[172:173], -v[36:37]
	v_mul_f64 v[36:37], v[176:177], v[174:175]
	v_fma_f64 v[57:58], v[178:179], v[172:173], v[36:37]
	s_waitcnt lgkmcnt(3)
	v_mul_f64 v[36:37], v[182:183], v[170:171]
	v_fma_f64 v[59:60], v[180:181], v[168:169], -v[36:37]
	v_mul_f64 v[36:37], v[180:181], v[170:171]
	v_fma_f64 v[61:62], v[182:183], v[168:169], v[36:37]
	v_lshrrev_b32_e32 v36, 22, v45
	v_mul_lo_u16 v36, 0x44, v36
	v_sub_nc_u16 v197, v242, v36
	v_lshlrev_b16 v36, 5, v197
	v_and_b32_e32 v36, 0xffff, v36
	v_add_co_u32 v36, s1, s2, v36
	v_add_co_ci_u32_e64 v37, null, s3, 0, s1
	s_clause 0x1
	global_load_dwordx4 v[176:179], v[36:37], off offset:1072
	global_load_dwordx4 v[180:183], v[36:37], off offset:1056
	s_waitcnt vmcnt(0) lgkmcnt(0)
	s_barrier
	buffer_gl0_inv
	v_mul_f64 v[36:37], v[190:191], v[182:183]
	v_fma_f64 v[63:64], v[188:189], v[180:181], -v[36:37]
	v_mul_f64 v[36:37], v[188:189], v[182:183]
	v_fma_f64 v[65:66], v[190:191], v[180:181], v[36:37]
	v_mul_f64 v[36:37], v[194:195], v[178:179]
	v_fma_f64 v[72:73], v[192:193], v[176:177], -v[36:37]
	v_mul_f64 v[36:37], v[192:193], v[178:179]
	v_fma_f64 v[74:75], v[194:195], v[176:177], v[36:37]
	v_add_f64 v[36:37], v[16:17], v[26:27]
	v_fma_f64 v[16:17], v[40:41], s[4:5], v[38:39]
	v_fma_f64 v[40:41], v[40:41], s[12:13], v[38:39]
	v_add_f64 v[38:39], v[18:19], v[30:31]
	v_add_f64 v[30:31], v[30:31], v[34:35]
	v_add_f64 v[26:27], v[26:27], -v[32:33]
	v_add_f64 v[36:37], v[36:37], v[32:33]
	v_add_f64 v[32:33], v[22:23], -v[28:29]
	v_add_f64 v[38:39], v[38:39], v[34:35]
	v_fma_f64 v[30:31], v[30:31], -0.5, v[18:19]
	v_add_f64 v[34:35], v[47:48], -v[51:52]
	v_fma_f64 v[18:19], v[26:27], s[12:13], v[30:31]
	v_fma_f64 v[42:43], v[26:27], s[4:5], v[30:31]
	v_add_f64 v[26:27], v[12:13], v[20:21]
	v_add_f64 v[30:31], v[26:27], v[24:25]
	;; [unrolled: 1-line block ×3, first 2 shown]
	v_add_f64 v[20:21], v[20:21], -v[24:25]
	v_add_f64 v[24:25], v[49:50], -v[53:54]
	v_fma_f64 v[26:27], v[26:27], -0.5, v[12:13]
	v_fma_f64 v[12:13], v[32:33], s[4:5], v[26:27]
	v_fma_f64 v[26:27], v[32:33], s[12:13], v[26:27]
	v_add_f64 v[32:33], v[14:15], v[22:23]
	v_add_f64 v[22:23], v[22:23], v[28:29]
	v_add_f64 v[32:33], v[32:33], v[28:29]
	v_fma_f64 v[22:23], v[22:23], -0.5, v[14:15]
	v_fma_f64 v[14:15], v[20:21], s[12:13], v[22:23]
	v_fma_f64 v[28:29], v[20:21], s[4:5], v[22:23]
	v_add_f64 v[22:23], v[47:48], v[51:52]
	v_add_f64 v[20:21], v[8:9], v[47:48]
	ds_write_b128 v68, v[36:39]
	ds_write_b128 v68, v[16:19] offset:1088
	ds_write_b128 v68, v[40:43] offset:2176
	;; [unrolled: 1-line block ×5, first 2 shown]
	v_lshl_add_u32 v12, v67, 4, v247
	v_fma_f64 v[22:23], v[22:23], -0.5, v[8:9]
	v_add_f64 v[20:21], v[20:21], v[51:52]
	v_fma_f64 v[8:9], v[24:25], s[4:5], v[22:23]
	v_fma_f64 v[44:45], v[24:25], s[12:13], v[22:23]
	v_add_f64 v[24:25], v[49:50], v[53:54]
	v_add_f64 v[22:23], v[10:11], v[49:50]
	v_fma_f64 v[24:25], v[24:25], -0.5, v[10:11]
	v_add_f64 v[22:23], v[22:23], v[53:54]
	v_fma_f64 v[10:11], v[34:35], s[12:13], v[24:25]
	v_fma_f64 v[46:47], v[34:35], s[4:5], v[24:25]
	v_add_f64 v[24:25], v[4:5], v[55:56]
	v_add_f64 v[34:35], v[57:58], -v[61:62]
	ds_write_b128 v12, v[20:23] offset:6528
	ds_write_b128 v12, v[8:11] offset:7616
	v_and_b32_e32 v8, 0xffff, v196
	buffer_store_dword v12, off, s[60:63], 0 offset:484 ; 4-byte Folded Spill
	v_add_f64 v[48:49], v[24:25], v[59:60]
	v_add_f64 v[24:25], v[55:56], v[59:60]
	ds_write_b128 v12, v[44:47] offset:8704
	v_lshl_add_u32 v8, v8, 4, v247
	v_fma_f64 v[24:25], v[24:25], -0.5, v[4:5]
	v_fma_f64 v[4:5], v[34:35], s[4:5], v[24:25]
	v_fma_f64 v[52:53], v[34:35], s[12:13], v[24:25]
	v_add_f64 v[24:25], v[6:7], v[57:58]
	v_add_f64 v[34:35], v[55:56], -v[59:60]
	v_add_f64 v[50:51], v[24:25], v[61:62]
	v_add_f64 v[24:25], v[57:58], v[61:62]
	v_fma_f64 v[24:25], v[24:25], -0.5, v[6:7]
	v_fma_f64 v[6:7], v[34:35], s[12:13], v[24:25]
	v_fma_f64 v[54:55], v[34:35], s[4:5], v[24:25]
	v_add_f64 v[24:25], v[0:1], v[63:64]
	v_add_f64 v[34:35], v[65:66], -v[74:75]
	ds_write_b128 v8, v[48:51] offset:9792
	ds_write_b128 v8, v[4:7] offset:10880
	v_and_b32_e32 v4, 0xffff, v197
	buffer_store_dword v8, off, s[60:63], 0 offset:476 ; 4-byte Folded Spill
	v_add_f64 v[56:57], v[24:25], v[72:73]
	v_add_f64 v[24:25], v[63:64], v[72:73]
	ds_write_b128 v8, v[52:55] offset:11968
	v_lshl_add_u32 v4, v4, 4, v247
	v_fma_f64 v[24:25], v[24:25], -0.5, v[0:1]
	v_fma_f64 v[0:1], v[34:35], s[4:5], v[24:25]
	v_fma_f64 v[132:133], v[34:35], s[12:13], v[24:25]
	v_add_f64 v[24:25], v[2:3], v[65:66]
	v_add_f64 v[34:35], v[63:64], -v[72:73]
	v_mov_b32_e32 v63, v247
	v_add_f64 v[58:59], v[24:25], v[74:75]
	v_add_f64 v[24:25], v[65:66], v[74:75]
	v_fma_f64 v[24:25], v[24:25], -0.5, v[2:3]
	v_fma_f64 v[134:135], v[34:35], s[4:5], v[24:25]
	v_fma_f64 v[2:3], v[34:35], s[12:13], v[24:25]
	ds_write_b128 v4, v[56:59] offset:13056
	ds_write_b128 v4, v[0:3] offset:14144
	buffer_store_dword v4, off, s[60:63], 0 offset:468 ; 4-byte Folded Spill
	ds_write_b128 v4, v[132:135] offset:15232
	s_waitcnt lgkmcnt(0)
	s_waitcnt_vscnt null, 0x0
	s_barrier
	buffer_gl0_inv
	ds_read_b128 v[250:253], v68
	ds_read_b128 v[216:219], v68 offset:3264
	ds_read_b128 v[212:215], v68 offset:6528
	;; [unrolled: 1-line block ×14, first 2 shown]
	buffer_load_dword v62, off, s[60:63], 0 ; 4-byte Folded Reload
	s_mov_b32 s12, 0x134454ff
	s_mov_b32 s13, 0x3fee6f0e
	;; [unrolled: 1-line block ×5, first 2 shown]
	s_waitcnt vmcnt(0)
	v_lshlrev_b32_e32 v16, 6, v62
	v_add_co_u32 v18, s1, s2, v16
	v_add_co_ci_u32_e64 v19, null, s3, 0, s1
	v_add_co_u32 v16, s1, 0xca0, v18
	v_add_co_ci_u32_e64 v17, s1, 0, v19, s1
	v_add_co_u32 v18, s1, 0x800, v18
	v_add_co_ci_u32_e64 v19, s1, 0, v19, s1
	s_clause 0x3
	global_load_dwordx4 v[188:191], v[18:19], off offset:1184
	global_load_dwordx4 v[192:195], v[16:17], off offset:48
	;; [unrolled: 1-line block ×4, first 2 shown]
	s_waitcnt vmcnt(3) lgkmcnt(13)
	v_mul_f64 v[16:17], v[218:219], v[190:191]
	v_fma_f64 v[18:19], v[216:217], v[188:189], -v[16:17]
	v_mul_f64 v[16:17], v[216:217], v[190:191]
	v_fma_f64 v[22:23], v[218:219], v[188:189], v[16:17]
	s_waitcnt vmcnt(0) lgkmcnt(12)
	v_mul_f64 v[16:17], v[214:215], v[202:203]
	v_fma_f64 v[28:29], v[212:213], v[200:201], -v[16:17]
	v_mul_f64 v[16:17], v[212:213], v[202:203]
	v_fma_f64 v[26:27], v[214:215], v[200:201], v[16:17]
	s_waitcnt lgkmcnt(11)
	v_mul_f64 v[16:17], v[210:211], v[198:199]
	v_fma_f64 v[54:55], v[208:209], v[196:197], -v[16:17]
	v_mul_f64 v[16:17], v[208:209], v[198:199]
	v_fma_f64 v[20:21], v[210:211], v[196:197], v[16:17]
	s_waitcnt lgkmcnt(10)
	v_mul_f64 v[16:17], v[206:207], v[194:195]
	v_fma_f64 v[132:133], v[204:205], v[192:193], -v[16:17]
	v_mul_f64 v[16:17], v[204:205], v[194:195]
	v_fma_f64 v[24:25], v[206:207], v[192:193], v[16:17]
	v_lshlrev_b32_e32 v16, 6, v254
	v_add_co_u32 v30, s1, s2, v16
	v_add_co_ci_u32_e64 v31, null, s3, 0, s1
	v_add_co_u32 v16, s1, 0xca0, v30
	v_add_co_ci_u32_e64 v17, s1, 0, v31, s1
	v_add_co_u32 v30, s1, 0x800, v30
	v_add_co_ci_u32_e64 v31, s1, 0, v31, s1
	s_clause 0x3
	global_load_dwordx4 v[212:215], v[30:31], off offset:1184
	global_load_dwordx4 v[204:207], v[16:17], off offset:48
	;; [unrolled: 1-line block ×4, first 2 shown]
	s_waitcnt vmcnt(3) lgkmcnt(8)
	v_mul_f64 v[16:17], v[234:235], v[214:215]
	v_fma_f64 v[38:39], v[232:233], v[212:213], -v[16:17]
	v_mul_f64 v[16:17], v[232:233], v[214:215]
	v_fma_f64 v[30:31], v[234:235], v[212:213], v[16:17]
	s_waitcnt vmcnt(0) lgkmcnt(7)
	v_mul_f64 v[16:17], v[230:231], v[218:219]
	v_fma_f64 v[40:41], v[228:229], v[216:217], -v[16:17]
	v_mul_f64 v[16:17], v[228:229], v[218:219]
	v_fma_f64 v[36:37], v[230:231], v[216:217], v[16:17]
	s_waitcnt lgkmcnt(6)
	v_mul_f64 v[16:17], v[226:227], v[210:211]
	v_fma_f64 v[42:43], v[224:225], v[208:209], -v[16:17]
	v_mul_f64 v[16:17], v[224:225], v[210:211]
	v_fma_f64 v[32:33], v[226:227], v[208:209], v[16:17]
	s_waitcnt lgkmcnt(5)
	v_mul_f64 v[16:17], v[222:223], v[206:207]
	v_fma_f64 v[44:45], v[220:221], v[204:205], -v[16:17]
	v_mul_f64 v[16:17], v[220:221], v[206:207]
	v_add_f64 v[60:61], v[42:43], -v[44:45]
	v_fma_f64 v[34:35], v[222:223], v[204:205], v[16:17]
	v_lshlrev_b32_e32 v16, 6, v69
	v_add_co_u32 v46, s1, s2, v16
	v_add_co_ci_u32_e64 v47, null, s3, 0, s1
	s_mov_b32 s2, 0x4755a5e
	v_add_co_u32 v16, s1, 0xca0, v46
	v_add_co_ci_u32_e64 v17, s1, 0, v47, s1
	v_add_co_u32 v46, s1, 0x800, v46
	v_add_co_ci_u32_e64 v47, s1, 0, v47, s1
	s_clause 0x3
	global_load_dwordx4 v[232:235], v[46:47], off offset:1184
	global_load_dwordx4 v[220:223], v[16:17], off offset:48
	;; [unrolled: 1-line block ×4, first 2 shown]
	s_mov_b32 s3, 0x3fe2cf23
	s_mov_b32 s16, s2
	s_waitcnt vmcnt(3) lgkmcnt(3)
	v_mul_f64 v[16:17], v[14:15], v[234:235]
	v_fma_f64 v[134:135], v[12:13], v[232:233], -v[16:17]
	v_mul_f64 v[12:13], v[12:13], v[234:235]
	v_fma_f64 v[46:47], v[14:15], v[232:233], v[12:13]
	s_waitcnt vmcnt(0) lgkmcnt(2)
	v_mul_f64 v[12:13], v[10:11], v[230:231]
	v_add_f64 v[14:15], v[54:55], -v[132:133]
	v_fma_f64 v[254:255], v[8:9], v[228:229], -v[12:13]
	v_mul_f64 v[8:9], v[8:9], v[230:231]
	v_add_f64 v[12:13], v[132:133], -v[54:55]
	v_fma_f64 v[48:49], v[10:11], v[228:229], v[8:9]
	s_waitcnt lgkmcnt(1)
	v_mul_f64 v[8:9], v[6:7], v[226:227]
	v_add_f64 v[10:11], v[18:19], -v[28:29]
	v_fma_f64 v[56:57], v[4:5], v[224:225], -v[8:9]
	v_mul_f64 v[4:5], v[4:5], v[226:227]
	v_add_f64 v[10:11], v[10:11], v[12:13]
	v_add_f64 v[12:13], v[28:29], -v[18:19]
	v_fma_f64 v[50:51], v[6:7], v[224:225], v[4:5]
	s_waitcnt lgkmcnt(0)
	v_mul_f64 v[4:5], v[2:3], v[222:223]
	v_add_f64 v[6:7], v[26:27], -v[20:21]
	v_add_f64 v[12:13], v[12:13], v[14:15]
	v_add_f64 v[14:15], v[28:29], -v[54:55]
	v_fma_f64 v[58:59], v[0:1], v[220:221], -v[4:5]
	v_mul_f64 v[0:1], v[0:1], v[222:223]
	v_fma_f64 v[52:53], v[2:3], v[220:221], v[0:1]
	v_add_f64 v[0:1], v[250:251], v[18:19]
	v_add_f64 v[2:3], v[22:23], -v[24:25]
	v_add_f64 v[0:1], v[0:1], v[28:29]
	v_add_f64 v[0:1], v[0:1], v[54:55]
	;; [unrolled: 1-line block ×4, first 2 shown]
	v_add_f64 v[28:29], v[24:25], -v[20:21]
	v_add_f64 v[54:55], v[40:41], -v[38:39]
	v_fma_f64 v[0:1], v[0:1], -0.5, v[250:251]
	v_add_f64 v[54:55], v[54:55], v[60:61]
	v_add_f64 v[60:61], v[52:53], -v[50:51]
	v_fma_f64 v[4:5], v[2:3], s[12:13], v[0:1]
	v_fma_f64 v[0:1], v[2:3], s[14:15], v[0:1]
	;; [unrolled: 1-line block ×5, first 2 shown]
	v_add_f64 v[4:5], v[18:19], v[132:133]
	v_fma_f64 v[0:1], v[10:11], s[4:5], v[0:1]
	v_fma_f64 v[4:5], v[4:5], -0.5, v[250:251]
	v_fma_f64 v[10:11], v[6:7], s[14:15], v[4:5]
	v_fma_f64 v[4:5], v[6:7], s[12:13], v[4:5]
	v_add_f64 v[6:7], v[18:19], -v[132:133]
	v_add_f64 v[18:19], v[22:23], -v[26:27]
	v_fma_f64 v[10:11], v[2:3], s[2:3], v[10:11]
	v_fma_f64 v[2:3], v[2:3], s[16:17], v[4:5]
	v_add_f64 v[28:29], v[18:19], v[28:29]
	v_fma_f64 v[250:251], v[12:13], s[4:5], v[10:11]
	v_fma_f64 v[4:5], v[12:13], s[4:5], v[2:3]
	v_add_f64 v[2:3], v[252:253], v[22:23]
	v_add_f64 v[2:3], v[2:3], v[26:27]
	v_add_f64 v[2:3], v[2:3], v[20:21]
	v_add_f64 v[10:11], v[2:3], v[24:25]
	v_add_f64 v[2:3], v[26:27], v[20:21]
	v_add_f64 v[20:21], v[20:21], -v[24:25]
	v_fma_f64 v[2:3], v[2:3], -0.5, v[252:253]
	v_fma_f64 v[12:13], v[6:7], s[14:15], v[2:3]
	v_fma_f64 v[2:3], v[6:7], s[12:13], v[2:3]
	v_fma_f64 v[12:13], v[14:15], s[16:17], v[12:13]
	v_fma_f64 v[2:3], v[14:15], s[2:3], v[2:3]
	v_fma_f64 v[18:19], v[28:29], s[4:5], v[12:13]
	v_add_f64 v[12:13], v[22:23], v[24:25]
	v_fma_f64 v[2:3], v[28:29], s[4:5], v[2:3]
	v_add_f64 v[22:23], v[26:27], -v[22:23]
	v_add_f64 v[26:27], v[36:37], -v[32:33]
	;; [unrolled: 1-line block ×3, first 2 shown]
	v_fma_f64 v[12:13], v[12:13], -0.5, v[252:253]
	v_add_f64 v[20:21], v[22:23], v[20:21]
	v_add_f64 v[22:23], v[30:31], -v[34:35]
	v_fma_f64 v[28:29], v[14:15], s[12:13], v[12:13]
	v_fma_f64 v[12:13], v[14:15], s[14:15], v[12:13]
	v_add_f64 v[14:15], v[40:41], v[42:43]
	v_fma_f64 v[28:29], v[6:7], s[16:17], v[28:29]
	v_fma_f64 v[6:7], v[6:7], s[2:3], v[12:13]
	v_fma_f64 v[14:15], v[14:15], -0.5, v[246:247]
	v_add_f64 v[12:13], v[246:247], v[38:39]
	v_fma_f64 v[252:253], v[20:21], s[4:5], v[28:29]
	v_fma_f64 v[6:7], v[20:21], s[4:5], v[6:7]
	;; [unrolled: 1-line block ×3, first 2 shown]
	v_add_f64 v[28:29], v[44:45], -v[42:43]
	v_fma_f64 v[14:15], v[22:23], s[14:15], v[14:15]
	v_add_f64 v[12:13], v[12:13], v[40:41]
	v_add_f64 v[40:41], v[40:41], -v[42:43]
	ds_write_b128 v68, v[8:11]
	ds_write_b128 v68, v[16:19] offset:3264
	ds_write_b128 v68, v[250:253] offset:6528
	v_lshl_add_u32 v8, v62, 4, v63
	v_fma_f64 v[20:21], v[26:27], s[2:3], v[20:21]
	v_add_f64 v[28:29], v[24:25], v[28:29]
	v_fma_f64 v[14:15], v[26:27], s[16:17], v[14:15]
	v_add_f64 v[12:13], v[12:13], v[42:43]
	v_add_f64 v[42:43], v[30:31], -v[36:37]
	ds_write_b128 v8, v[4:7] offset:9792
	buffer_store_dword v8, off, s[60:63], 0 offset:16 ; 4-byte Folded Spill
	v_add_co_u32 v4, s1, 0x3fc0, v70
	v_add_co_ci_u32_e64 v5, s1, 0, v71, s1
	v_fma_f64 v[24:25], v[28:29], s[4:5], v[20:21]
	v_fma_f64 v[20:21], v[28:29], s[4:5], v[14:15]
	v_add_f64 v[14:15], v[38:39], v[44:45]
	v_add_f64 v[38:39], v[38:39], -v[44:45]
	v_add_f64 v[12:13], v[12:13], v[44:45]
	v_add_f64 v[44:45], v[34:35], -v[32:33]
	v_fma_f64 v[14:15], v[14:15], -0.5, v[246:247]
	v_add_f64 v[42:43], v[42:43], v[44:45]
	v_fma_f64 v[28:29], v[26:27], s[14:15], v[14:15]
	v_fma_f64 v[14:15], v[26:27], s[12:13], v[14:15]
	;; [unrolled: 1-line block ×4, first 2 shown]
	v_add_f64 v[22:23], v[36:37], v[32:33]
	v_fma_f64 v[246:247], v[54:55], s[4:5], v[28:29]
	v_fma_f64 v[28:29], v[54:55], s[4:5], v[14:15]
	v_fma_f64 v[22:23], v[22:23], -0.5, v[248:249]
	v_add_f64 v[14:15], v[248:249], v[30:31]
	v_add_f64 v[54:55], v[56:57], -v[58:59]
	v_fma_f64 v[26:27], v[38:39], s[14:15], v[22:23]
	v_fma_f64 v[22:23], v[38:39], s[12:13], v[22:23]
	v_add_f64 v[14:15], v[14:15], v[36:37]
	v_fma_f64 v[26:27], v[40:41], s[16:17], v[26:27]
	v_fma_f64 v[22:23], v[40:41], s[2:3], v[22:23]
	v_add_f64 v[14:15], v[14:15], v[32:33]
	v_add_f64 v[32:33], v[32:33], -v[34:35]
	v_fma_f64 v[26:27], v[42:43], s[4:5], v[26:27]
	v_fma_f64 v[22:23], v[42:43], s[4:5], v[22:23]
	v_add_f64 v[42:43], v[30:31], v[34:35]
	v_add_f64 v[30:31], v[36:37], -v[30:31]
	v_add_f64 v[14:15], v[14:15], v[34:35]
	v_add_f64 v[34:35], v[254:255], v[56:57]
	v_fma_f64 v[42:43], v[42:43], -0.5, v[248:249]
	v_add_f64 v[30:31], v[30:31], v[32:33]
	v_fma_f64 v[34:35], v[34:35], -0.5, v[242:243]
	v_fma_f64 v[44:45], v[40:41], s[12:13], v[42:43]
	v_fma_f64 v[32:33], v[40:41], s[14:15], v[42:43]
	v_add_f64 v[42:43], v[48:49], -v[50:51]
	v_add_f64 v[40:41], v[134:135], -v[254:255]
	v_fma_f64 v[44:45], v[38:39], s[16:17], v[44:45]
	v_fma_f64 v[32:33], v[38:39], s[2:3], v[32:33]
	v_add_f64 v[38:39], v[46:47], -v[52:53]
	v_fma_f64 v[248:249], v[30:31], s[4:5], v[44:45]
	v_add_f64 v[44:45], v[58:59], -v[56:57]
	v_fma_f64 v[36:37], v[38:39], s[12:13], v[34:35]
	v_fma_f64 v[34:35], v[38:39], s[14:15], v[34:35]
	;; [unrolled: 1-line block ×3, first 2 shown]
	v_add_f64 v[32:33], v[242:243], v[134:135]
	v_add_f64 v[40:41], v[40:41], v[44:45]
	v_fma_f64 v[36:37], v[42:43], s[2:3], v[36:37]
	v_fma_f64 v[34:35], v[42:43], s[16:17], v[34:35]
	v_add_f64 v[44:45], v[254:255], -v[134:135]
	v_add_f64 v[32:33], v[32:33], v[254:255]
	v_fma_f64 v[36:37], v[40:41], s[4:5], v[36:37]
	v_fma_f64 v[240:241], v[40:41], s[4:5], v[34:35]
	v_add_f64 v[34:35], v[134:135], v[58:59]
	v_add_f64 v[32:33], v[32:33], v[56:57]
	;; [unrolled: 1-line block ×3, first 2 shown]
	v_add_f64 v[54:55], v[134:135], -v[58:59]
	v_add_f64 v[56:57], v[254:255], -v[56:57]
	v_fma_f64 v[34:35], v[34:35], -0.5, v[242:243]
	v_add_f64 v[32:33], v[32:33], v[58:59]
	v_add_f64 v[58:59], v[46:47], -v[48:49]
	v_fma_f64 v[40:41], v[42:43], s[14:15], v[34:35]
	v_fma_f64 v[34:35], v[42:43], s[12:13], v[34:35]
	v_add_f64 v[58:59], v[58:59], v[60:61]
	v_fma_f64 v[40:41], v[38:39], s[2:3], v[40:41]
	v_fma_f64 v[34:35], v[38:39], s[16:17], v[34:35]
	v_add_f64 v[38:39], v[48:49], v[50:51]
	v_fma_f64 v[40:41], v[44:45], s[4:5], v[40:41]
	v_fma_f64 v[44:45], v[44:45], s[4:5], v[34:35]
	v_fma_f64 v[42:43], v[38:39], -0.5, v[244:245]
	v_add_f64 v[34:35], v[244:245], v[46:47]
	v_fma_f64 v[38:39], v[54:55], s[14:15], v[42:43]
	v_fma_f64 v[42:43], v[54:55], s[12:13], v[42:43]
	v_add_f64 v[34:35], v[34:35], v[48:49]
	v_fma_f64 v[38:39], v[56:57], s[16:17], v[38:39]
	v_fma_f64 v[42:43], v[56:57], s[2:3], v[42:43]
	;; [unrolled: 3-line block ×3, first 2 shown]
	v_add_f64 v[42:43], v[46:47], v[52:53]
	v_add_f64 v[46:47], v[48:49], -v[46:47]
	v_add_f64 v[48:49], v[50:51], -v[52:53]
	v_add_f64 v[34:35], v[34:35], v[52:53]
	v_fma_f64 v[58:59], v[42:43], -0.5, v[244:245]
	v_add_f64 v[46:47], v[46:47], v[48:49]
	v_fma_f64 v[42:43], v[56:57], s[12:13], v[58:59]
	v_fma_f64 v[48:49], v[56:57], s[14:15], v[58:59]
	;; [unrolled: 1-line block ×6, first 2 shown]
	ds_write_b128 v8, v[0:3] offset:13056
	ds_write_b128 v68, v[12:15] offset:1088
	;; [unrolled: 1-line block ×11, first 2 shown]
	s_waitcnt lgkmcnt(0)
	s_waitcnt_vscnt null, 0x0
	s_barrier
	buffer_gl0_inv
	ds_read_b128 v[0:3], v68
	s_clause 0x1
	buffer_load_dword v6, off, s[60:63], 0 offset:4
	buffer_load_dword v7, off, s[60:63], 0 offset:8
	v_add_co_u32 v14, s1, 0x5800, v70
	v_add_co_ci_u32_e64 v15, s1, 0, v71, s1
	s_waitcnt vmcnt(0)
	global_load_dwordx4 v[6:9], v[6:7], off offset:1984
	s_waitcnt vmcnt(0) lgkmcnt(0)
	v_mul_f64 v[10:11], v[2:3], v[8:9]
	v_fma_f64 v[10:11], v[0:1], v[6:7], -v[10:11]
	v_mul_f64 v[0:1], v[0:1], v[8:9]
	v_fma_f64 v[12:13], v[2:3], v[6:7], v[0:1]
	global_load_dwordx4 v[6:9], v[14:15], off offset:1952
	ds_read_b128 v[0:3], v68 offset:8160
	ds_write_b128 v68, v[10:13]
	s_waitcnt vmcnt(0) lgkmcnt(1)
	v_mul_f64 v[10:11], v[2:3], v[8:9]
	v_fma_f64 v[10:11], v[0:1], v[6:7], -v[10:11]
	v_mul_f64 v[0:1], v[0:1], v[8:9]
	v_fma_f64 v[12:13], v[2:3], v[6:7], v[0:1]
	global_load_dwordx4 v[6:9], v[4:5], off offset:1088
	ds_read_b128 v[0:3], v68 offset:1088
	ds_write_b128 v68, v[10:13] offset:8160
	s_waitcnt vmcnt(0) lgkmcnt(1)
	v_mul_f64 v[10:11], v[2:3], v[8:9]
	v_fma_f64 v[10:11], v[0:1], v[6:7], -v[10:11]
	v_mul_f64 v[0:1], v[0:1], v[8:9]
	v_fma_f64 v[12:13], v[2:3], v[6:7], v[0:1]
	v_add_co_u32 v6, s1, 0x6000, v70
	v_add_co_ci_u32_e64 v7, s1, 0, v71, s1
	ds_read_b128 v[0:3], v68 offset:9248
	v_add_co_u32 v16, s1, 0x4800, v70
	global_load_dwordx4 v[6:9], v[6:7], off offset:992
	v_add_co_ci_u32_e64 v17, s1, 0, v71, s1
	v_add_co_u32 v18, s1, 0x6800, v70
	v_add_co_ci_u32_e64 v19, s1, 0, v71, s1
	ds_write_b128 v68, v[10:13] offset:1088
	s_waitcnt vmcnt(0) lgkmcnt(1)
	v_mul_f64 v[10:11], v[2:3], v[8:9]
	v_fma_f64 v[10:11], v[0:1], v[6:7], -v[10:11]
	v_mul_f64 v[0:1], v[0:1], v[8:9]
	v_fma_f64 v[12:13], v[2:3], v[6:7], v[0:1]
	global_load_dwordx4 v[6:9], v[16:17], off offset:64
	ds_read_b128 v[0:3], v68 offset:2176
	ds_write_b128 v68, v[10:13] offset:9248
	s_waitcnt vmcnt(0) lgkmcnt(1)
	v_mul_f64 v[10:11], v[2:3], v[8:9]
	v_fma_f64 v[10:11], v[0:1], v[6:7], -v[10:11]
	v_mul_f64 v[0:1], v[0:1], v[8:9]
	v_fma_f64 v[12:13], v[2:3], v[6:7], v[0:1]
	global_load_dwordx4 v[6:9], v[18:19], off offset:32
	ds_read_b128 v[0:3], v68 offset:10336
	;; [unrolled: 8-line block ×3, first 2 shown]
	v_add_co_u32 v16, s1, 0x5000, v70
	v_add_co_ci_u32_e64 v17, s1, 0, v71, s1
	ds_write_b128 v68, v[10:13] offset:10336
	s_waitcnt vmcnt(0) lgkmcnt(1)
	v_mul_f64 v[10:11], v[2:3], v[8:9]
	v_fma_f64 v[10:11], v[0:1], v[6:7], -v[10:11]
	v_mul_f64 v[0:1], v[0:1], v[8:9]
	v_fma_f64 v[12:13], v[2:3], v[6:7], v[0:1]
	global_load_dwordx4 v[6:9], v[18:19], off offset:1120
	ds_read_b128 v[0:3], v68 offset:11424
	v_add_co_u32 v18, s1, 0x7000, v70
	v_add_co_ci_u32_e64 v19, s1, 0, v71, s1
	ds_write_b128 v68, v[10:13] offset:3264
	s_waitcnt vmcnt(0) lgkmcnt(1)
	v_mul_f64 v[10:11], v[2:3], v[8:9]
	v_fma_f64 v[10:11], v[0:1], v[6:7], -v[10:11]
	v_mul_f64 v[0:1], v[0:1], v[8:9]
	v_fma_f64 v[12:13], v[2:3], v[6:7], v[0:1]
	global_load_dwordx4 v[6:9], v[16:17], off offset:192
	ds_read_b128 v[0:3], v68 offset:4352
	ds_write_b128 v68, v[10:13] offset:11424
	s_waitcnt vmcnt(0) lgkmcnt(1)
	v_mul_f64 v[10:11], v[2:3], v[8:9]
	v_fma_f64 v[10:11], v[0:1], v[6:7], -v[10:11]
	v_mul_f64 v[0:1], v[0:1], v[8:9]
	v_fma_f64 v[12:13], v[2:3], v[6:7], v[0:1]
	global_load_dwordx4 v[6:9], v[18:19], off offset:160
	ds_read_b128 v[0:3], v68 offset:12512
	;; [unrolled: 8-line block ×5, first 2 shown]
	ds_write_b128 v68, v[10:13] offset:13600
	s_waitcnt vmcnt(0) lgkmcnt(1)
	v_mul_f64 v[10:11], v[2:3], v[8:9]
	v_fma_f64 v[10:11], v[0:1], v[6:7], -v[10:11]
	v_mul_f64 v[0:1], v[0:1], v[8:9]
	v_fma_f64 v[12:13], v[2:3], v[6:7], v[0:1]
	v_add_co_u32 v6, s1, 0x7800, v70
	v_add_co_ci_u32_e64 v7, s1, 0, v71, s1
	ds_read_b128 v[0:3], v68 offset:14688
	global_load_dwordx4 v[6:9], v[6:7], off offset:288
	ds_write_b128 v68, v[10:13] offset:6528
	s_waitcnt vmcnt(0) lgkmcnt(1)
	v_mul_f64 v[10:11], v[2:3], v[8:9]
	v_fma_f64 v[10:11], v[0:1], v[6:7], -v[10:11]
	v_mul_f64 v[0:1], v[0:1], v[8:9]
	v_fma_f64 v[12:13], v[2:3], v[6:7], v[0:1]
	ds_write_b128 v68, v[10:13] offset:14688
	s_and_saveexec_b32 s2, vcc_lo
	s_cbranch_execz .LBB0_17
; %bb.16:
	v_add_co_u32 v6, s1, 0x1800, v4
	v_add_co_ci_u32_e64 v7, s1, 0, v5, s1
	ds_read_b128 v[0:3], v68 offset:7616
	v_add_co_u32 v4, s1, 0x3800, v4
	global_load_dwordx4 v[6:9], v[6:7], off offset:1472
	v_add_co_ci_u32_e64 v5, s1, 0, v5, s1
	s_waitcnt vmcnt(0) lgkmcnt(0)
	v_mul_f64 v[10:11], v[2:3], v[8:9]
	v_fma_f64 v[10:11], v[0:1], v[6:7], -v[10:11]
	v_mul_f64 v[0:1], v[0:1], v[8:9]
	v_fma_f64 v[12:13], v[2:3], v[6:7], v[0:1]
	global_load_dwordx4 v[4:7], v[4:5], off offset:1440
	ds_read_b128 v[0:3], v68 offset:15776
	ds_write_b128 v68, v[10:13] offset:7616
	s_waitcnt vmcnt(0) lgkmcnt(1)
	v_mul_f64 v[8:9], v[2:3], v[6:7]
	v_fma_f64 v[8:9], v[0:1], v[4:5], -v[8:9]
	v_mul_f64 v[0:1], v[0:1], v[6:7]
	v_fma_f64 v[10:11], v[2:3], v[4:5], v[0:1]
	ds_write_b128 v68, v[8:11] offset:15776
.LBB0_17:
	s_or_b32 exec_lo, exec_lo, s2
	s_waitcnt lgkmcnt(0)
	s_barrier
	buffer_gl0_inv
	ds_read_b128 v[4:7], v68
	ds_read_b128 v[16:19], v68 offset:1088
	ds_read_b128 v[36:39], v68 offset:9248
	;; [unrolled: 1-line block ×13, first 2 shown]
	s_and_saveexec_b32 s1, vcc_lo
	s_cbranch_execz .LBB0_19
; %bb.18:
	buffer_load_dword v44, off, s[60:63], 0 offset:16 ; 4-byte Folded Reload
	s_waitcnt vmcnt(0)
	ds_read_b128 v[240:243], v44 offset:7616
	ds_read_b128 v[236:239], v44 offset:15776
.LBB0_19:
	s_or_b32 exec_lo, exec_lo, s1
	s_waitcnt lgkmcnt(11)
	v_add_f64 v[36:37], v[16:17], -v[36:37]
	s_waitcnt lgkmcnt(1)
	v_add_f64 v[0:1], v[48:49], -v[0:1]
	v_add_f64 v[248:249], v[28:29], -v[40:41]
	s_waitcnt lgkmcnt(0)
	s_barrier
	buffer_gl0_inv
	v_add_f64 v[32:33], v[4:5], -v[32:33]
	v_add_f64 v[34:35], v[6:7], -v[34:35]
	;; [unrolled: 1-line block ×13, first 2 shown]
	v_fma_f64 v[40:41], v[16:17], 2.0, -v[36:37]
	v_fma_f64 v[16:17], v[48:49], 2.0, -v[0:1]
	buffer_load_dword v48, off, s[60:63], 0 offset:348 ; 4-byte Folded Reload
	v_fma_f64 v[44:45], v[28:29], 2.0, -v[248:249]
	v_fma_f64 v[236:237], v[4:5], 2.0, -v[32:33]
	;; [unrolled: 1-line block ×4, first 2 shown]
	s_waitcnt vmcnt(0)
	ds_write_b128 v48, v[32:35] offset:16
	ds_write_b128 v48, v[236:239]
	buffer_load_dword v48, off, s[60:63], 0 offset:356 ; 4-byte Folded Reload
	v_fma_f64 v[42:43], v[18:19], 2.0, -v[38:39]
	v_fma_f64 v[46:47], v[30:31], 2.0, -v[250:251]
	;; [unrolled: 1-line block ×10, first 2 shown]
	s_waitcnt vmcnt(0)
	ds_write_b128 v48, v[40:43]
	ds_write_b128 v48, v[36:39] offset:16
	buffer_load_dword v48, off, s[60:63], 0 offset:364 ; 4-byte Folded Reload
	s_waitcnt vmcnt(0)
	ds_write_b128 v48, v[44:47]
	ds_write_b128 v48, v[248:251] offset:16
	buffer_load_dword v48, off, s[60:63], 0 offset:372 ; 4-byte Folded Reload
	s_waitcnt vmcnt(0)
	ds_write_b128 v48, v[252:255]
	ds_write_b128 v48, v[12:15] offset:16
	buffer_load_dword v48, off, s[60:63], 0 offset:380 ; 4-byte Folded Reload
	s_waitcnt vmcnt(0)
	ds_write_b128 v48, v[24:27]
	ds_write_b128 v48, v[8:11] offset:16
	buffer_load_dword v48, off, s[60:63], 0 offset:388 ; 4-byte Folded Reload
	s_waitcnt vmcnt(0)
	ds_write_b128 v48, v[16:19]
	ds_write_b128 v48, v[0:3] offset:16
	buffer_load_dword v48, off, s[60:63], 0 offset:396 ; 4-byte Folded Reload
	s_waitcnt vmcnt(0)
	ds_write_b128 v48, v[4:7]
	ds_write_b128 v48, v[20:23] offset:16
	s_and_saveexec_b32 s1, vcc_lo
	s_cbranch_execz .LBB0_21
; %bb.20:
	buffer_load_dword v48, off, s[60:63], 0 offset:492 ; 4-byte Folded Reload
	s_waitcnt vmcnt(0)
	ds_write_b128 v48, v[28:31]
	ds_write_b128 v48, v[244:247] offset:16
.LBB0_21:
	s_or_b32 exec_lo, exec_lo, s1
	s_waitcnt lgkmcnt(0)
	s_barrier
	buffer_gl0_inv
	s_and_saveexec_b32 s1, s0
	s_cbranch_execz .LBB0_23
; %bb.22:
	ds_read_b128 v[236:239], v68
	ds_read_b128 v[32:35], v68 offset:960
	ds_read_b128 v[40:43], v68 offset:1920
	;; [unrolled: 1-line block ×16, first 2 shown]
.LBB0_23:
	s_or_b32 exec_lo, exec_lo, s1
	s_clause 0x3
	buffer_load_dword v56, off, s[60:63], 0 offset:332
	buffer_load_dword v57, off, s[60:63], 0 offset:336
	;; [unrolled: 1-line block ×4, first 2 shown]
	s_waitcnt lgkmcnt(15)
	v_mul_f64 v[48:49], v[102:103], v[34:35]
	s_mov_b32 s14, 0x2a9d6da3
	s_mov_b32 s15, 0xbfe58eea
	;; [unrolled: 1-line block ×21, first 2 shown]
	v_fma_f64 v[48:49], v[100:101], v[32:33], v[48:49]
	v_mul_f64 v[32:33], v[102:103], v[32:33]
	s_mov_b32 s25, 0xbfeb34fa
	s_mov_b32 s34, 0x923c349f
	;; [unrolled: 1-line block ×19, first 2 shown]
	v_fma_f64 v[50:51], v[100:101], v[34:35], -v[32:33]
	s_waitcnt lgkmcnt(14)
	v_mul_f64 v[32:33], v[98:99], v[42:43]
	s_waitcnt lgkmcnt(12)
	v_mul_f64 v[34:35], v[90:91], v[44:45]
	v_fma_f64 v[100:101], v[96:97], v[40:41], v[32:33]
	v_mul_f64 v[32:33], v[98:99], v[40:41]
	v_fma_f64 v[98:99], v[88:89], v[46:47], -v[34:35]
	s_waitcnt lgkmcnt(11)
	v_mul_f64 v[34:35], v[86:87], v[248:249]
	s_waitcnt lgkmcnt(9)
	v_mul_f64 v[40:41], v[146:147], v[14:15]
	v_fma_f64 v[60:61], v[96:97], v[42:43], -v[32:33]
	v_mul_f64 v[32:33], v[94:95], v[38:39]
	v_fma_f64 v[66:67], v[84:85], v[250:251], -v[34:35]
	v_mul_f64 v[34:35], v[78:79], v[254:255]
	v_fma_f64 v[102:103], v[92:93], v[36:37], v[32:33]
	v_mul_f64 v[32:33], v[94:95], v[36:37]
	s_waitcnt lgkmcnt(0)
	v_mul_f64 v[36:37], v[82:83], v[184:185]
	v_fma_f64 v[62:63], v[92:93], v[38:39], -v[32:33]
	v_mul_f64 v[32:33], v[90:91], v[46:47]
	v_mul_f64 v[38:39], v[82:83], v[186:187]
	v_fma_f64 v[69:70], v[80:81], v[186:187], -v[36:37]
	v_mul_f64 v[36:37], v[78:79], v[252:253]
	v_fma_f64 v[96:97], v[88:89], v[44:45], v[32:33]
	v_mul_f64 v[32:33], v[86:87], v[250:251]
	v_fma_f64 v[74:75], v[80:81], v[184:185], v[38:39]
	v_add_f64 v[184:185], v[50:51], -v[69:70]
	v_mul_f64 v[44:45], v[146:147], v[12:13]
	v_fma_f64 v[92:93], v[76:77], v[254:255], -v[36:37]
	v_mul_f64 v[36:37], v[138:139], v[24:25]
	v_fma_f64 v[64:65], v[84:85], v[248:249], v[32:33]
	v_mov_b32_e32 v85, v49
	v_mov_b32_e32 v84, v48
	s_clause 0x7
	buffer_load_dword v46, off, s[60:63], 0 offset:316
	buffer_load_dword v47, off, s[60:63], 0 offset:320
	;; [unrolled: 1-line block ×8, first 2 shown]
	v_mul_f64 v[71:72], v[184:185], s[14:15]
	v_fma_f64 v[78:79], v[144:145], v[14:15], -v[44:45]
	v_add_f64 v[242:243], v[84:85], v[74:75]
	s_waitcnt vmcnt(8)
	v_mul_f64 v[32:33], v[58:59], v[244:245]
	v_mul_f64 v[38:39], v[58:59], v[246:247]
	v_fma_f64 v[58:59], v[76:77], v[252:253], v[34:35]
	v_mul_f64 v[34:35], v[138:139], v[26:27]
	v_fma_f64 v[138:139], v[136:137], v[26:27], -v[36:37]
	v_fma_f64 v[90:91], v[56:57], v[246:247], -v[32:33]
	v_mov_b32_e32 v32, v50
	v_mov_b32_e32 v33, v51
	v_fma_f64 v[246:247], v[144:145], v[12:13], v[40:41]
	v_mul_f64 v[12:13], v[158:159], v[10:11]
	v_fma_f64 v[76:77], v[56:57], v[244:245], v[38:39]
	buffer_store_dword v32, off, s[60:63], 0 offset:380 ; 4-byte Folded Spill
	buffer_store_dword v33, off, s[60:63], 0 offset:384 ; 4-byte Folded Spill
	;; [unrolled: 1-line block ×4, first 2 shown]
	v_mul_f64 v[40:41], v[154:155], v[18:19]
	v_fma_f64 v[244:245], v[136:137], v[24:25], v[34:35]
	v_mul_f64 v[38:39], v[158:159], v[8:9]
	v_add_f64 v[34:35], v[84:85], -v[74:75]
	v_fma_f64 v[86:87], v[156:157], v[8:9], v[12:13]
	v_add_f64 v[94:95], v[100:101], -v[76:77]
	v_add_f64 v[26:27], v[100:101], v[76:77]
	v_fma_f64 v[82:83], v[156:157], v[10:11], -v[38:39]
	s_waitcnt vmcnt(4)
	v_mul_f64 v[42:43], v[48:49], v[28:29]
	v_mul_f64 v[48:49], v[48:49], v[30:31]
	s_waitcnt vmcnt(0)
	v_mul_f64 v[50:51], v[54:55], v[20:21]
	v_mul_f64 v[36:37], v[54:55], v[22:23]
	v_fma_f64 v[30:31], v[46:47], v[30:31], -v[42:43]
	v_fma_f64 v[54:55], v[46:47], v[28:29], v[48:49]
	v_mul_f64 v[42:43], v[154:155], v[16:17]
	v_fma_f64 v[22:23], v[52:53], v[22:23], -v[50:51]
	v_fma_f64 v[16:17], v[152:153], v[16:17], v[40:41]
	v_add_f64 v[24:25], v[62:63], -v[30:31]
	v_fma_f64 v[144:145], v[152:153], v[18:19], -v[42:43]
	v_add_f64 v[18:19], v[102:103], v[54:55]
	v_add_f64 v[88:89], v[98:99], -v[22:23]
	v_add_f64 v[132:133], v[246:247], v[16:17]
	v_add_f64 v[136:137], v[78:79], v[144:145]
	v_mul_f64 v[154:155], v[88:89], s[22:23]
	v_mul_f64 v[80:81], v[88:89], s[34:35]
	v_add_f64 v[32:33], v[32:33], v[69:70]
	v_add_f64 v[69:70], v[60:61], -v[90:91]
	buffer_store_dword v60, off, s[60:63], 0 offset:316 ; 4-byte Folded Spill
	buffer_store_dword v61, off, s[60:63], 0 offset:320 ; 4-byte Folded Spill
	buffer_store_dword v71, off, s[60:63], 0 offset:572 ; 4-byte Folded Spill
	buffer_store_dword v72, off, s[60:63], 0 offset:576 ; 4-byte Folded Spill
	s_clause 0x7
	buffer_load_dword v46, off, s[60:63], 0 offset:284
	buffer_load_dword v47, off, s[60:63], 0 offset:288
	;; [unrolled: 1-line block ×8, first 2 shown]
	buffer_store_dword v62, off, s[60:63], 0 offset:300 ; 4-byte Folded Spill
	buffer_store_dword v63, off, s[60:63], 0 offset:304 ; 4-byte Folded Spill
	v_mul_f64 v[56:57], v[69:70], s[16:17]
	v_add_f64 v[28:29], v[60:61], v[90:91]
	v_mul_f64 v[60:61], v[32:33], s[2:3]
	v_fma_f64 v[44:45], v[242:243], s[2:3], -v[71:72]
	s_waitcnt vmcnt(4)
	v_mul_f64 v[8:9], v[48:49], v[2:3]
	v_mul_f64 v[10:11], v[48:49], v[0:1]
	s_waitcnt vmcnt(0)
	v_mul_f64 v[38:39], v[14:15], v[6:7]
	v_mul_f64 v[48:49], v[14:15], v[4:5]
	v_fma_f64 v[14:15], v[52:53], v[20:21], v[36:37]
	v_add_f64 v[20:21], v[62:63], v[30:31]
	v_mul_f64 v[52:53], v[24:25], s[4:5]
	buffer_store_dword v60, off, s[60:63], 0 offset:580 ; 4-byte Folded Spill
	buffer_store_dword v61, off, s[60:63], 0 offset:584 ; 4-byte Folded Spill
	;; [unrolled: 1-line block ×6, first 2 shown]
	v_mul_f64 v[50:51], v[28:29], s[18:19]
	buffer_store_dword v98, off, s[60:63], 0 offset:524 ; 4-byte Folded Spill
	buffer_store_dword v99, off, s[60:63], 0 offset:528 ; 4-byte Folded Spill
	v_fma_f64 v[71:72], v[46:47], v[0:1], v[8:9]
	v_fma_f64 v[46:47], v[46:47], v[2:3], -v[10:11]
	v_mul_f64 v[146:147], v[20:21], s[12:13]
	v_add_f64 v[42:43], v[236:237], v[44:45]
	v_fma_f64 v[38:39], v[12:13], v[4:5], v[38:39]
	v_fma_f64 v[12:13], v[12:13], v[6:7], -v[48:49]
	v_fma_f64 v[4:5], v[18:19], s[12:13], -v[52:53]
	v_mul_f64 v[44:45], v[32:33], s[26:27]
	buffer_store_dword v50, off, s[60:63], 0 offset:676 ; 4-byte Folded Spill
	buffer_store_dword v51, off, s[60:63], 0 offset:680 ; 4-byte Folded Spill
	v_add_f64 v[248:249], v[58:59], v[71:72]
	v_add_f64 v[156:157], v[64:65], v[38:39]
	v_fma_f64 v[36:37], v[34:35], s[14:15], v[60:61]
	v_fma_f64 v[40:41], v[26:27], s[18:19], -v[56:57]
	v_add_f64 v[152:153], v[102:103], -v[54:55]
	v_add_f64 v[102:103], v[96:97], v[14:15]
	buffer_store_dword v96, off, s[60:63], 0 offset:516 ; 4-byte Folded Spill
	buffer_store_dword v97, off, s[60:63], 0 offset:520 ; 4-byte Folded Spill
	v_add_f64 v[134:135], v[98:99], v[22:23]
	v_add_f64 v[2:3], v[238:239], v[36:37]
	;; [unrolled: 1-line block ×3, first 2 shown]
	v_add_f64 v[42:43], v[66:67], -v[12:13]
	v_fma_f64 v[0:1], v[94:95], s[16:17], v[50:51]
	v_mul_f64 v[50:51], v[184:185], s[48:49]
	v_mul_f64 v[48:49], v[134:135], s[20:21]
	v_fma_f64 v[8:9], v[102:103], s[28:29], -v[80:81]
	v_add_f64 v[4:5], v[4:5], v[6:7]
	v_fma_f64 v[6:7], v[102:103], s[20:21], -v[154:155]
	v_add_f64 v[0:1], v[0:1], v[2:3]
	v_fma_f64 v[2:3], v[152:153], s[4:5], v[146:147]
	v_add_f64 v[4:5], v[6:7], v[4:5]
	v_add_f64 v[0:1], v[2:3], v[0:1]
	v_add_f64 v[186:187], v[96:97], -v[14:15]
	v_add_f64 v[96:97], v[78:79], -v[144:145]
	v_fma_f64 v[2:3], v[186:187], s[22:23], v[48:49]
	v_add_f64 v[0:1], v[2:3], v[0:1]
	v_mul_f64 v[2:3], v[42:43], s[36:37]
	buffer_store_dword v2, off, s[60:63], 0 offset:396 ; 4-byte Folded Spill
	buffer_store_dword v3, off, s[60:63], 0 offset:400 ; 4-byte Folded Spill
	;; [unrolled: 1-line block ×6, first 2 shown]
	v_fma_f64 v[2:3], v[156:157], s[24:25], -v[2:3]
	v_add_f64 v[158:159], v[66:67], v[12:13]
	v_add_f64 v[240:241], v[64:65], -v[38:39]
	v_add_f64 v[64:65], v[92:93], -v[46:47]
	buffer_store_dword v92, off, s[60:63], 0 offset:348 ; 4-byte Folded Spill
	buffer_store_dword v93, off, s[60:63], 0 offset:352 ; 4-byte Folded Spill
	;; [unrolled: 1-line block ×4, first 2 shown]
	v_add_f64 v[2:3], v[2:3], v[4:5]
	v_mul_f64 v[56:57], v[158:159], s[24:25]
	v_mul_f64 v[98:99], v[64:65], s[34:35]
	v_fma_f64 v[4:5], v[240:241], s[36:37], v[56:57]
	v_add_f64 v[0:1], v[4:5], v[0:1]
	v_fma_f64 v[4:5], v[248:249], s[28:29], -v[98:99]
	v_add_f64 v[2:3], v[4:5], v[2:3]
	v_add_f64 v[254:255], v[92:93], v[46:47]
	v_add_f64 v[58:59], v[58:59], -v[71:72]
	v_add_f64 v[92:93], v[244:245], v[86:87]
	v_mul_f64 v[4:5], v[254:255], s[28:29]
	buffer_store_dword v4, off, s[60:63], 0 offset:532 ; 4-byte Folded Spill
	buffer_store_dword v5, off, s[60:63], 0 offset:536 ; 4-byte Folded Spill
	v_fma_f64 v[4:5], v[58:59], s[34:35], v[4:5]
	v_add_f64 v[0:1], v[4:5], v[0:1]
	v_mul_f64 v[4:5], v[96:97], s[38:39]
	buffer_store_dword v4, off, s[60:63], 0 offset:540 ; 4-byte Folded Spill
	buffer_store_dword v5, off, s[60:63], 0 offset:544 ; 4-byte Folded Spill
	;; [unrolled: 1-line block ×4, first 2 shown]
	v_fma_f64 v[4:5], v[132:133], s[26:27], -v[4:5]
	v_add_f64 v[62:63], v[246:247], -v[16:17]
	v_add_f64 v[246:247], v[138:139], -v[82:83]
	v_add_f64 v[2:3], v[4:5], v[2:3]
	v_mul_f64 v[4:5], v[136:137], s[26:27]
	buffer_store_dword v4, off, s[60:63], 0 offset:556 ; 4-byte Folded Spill
	buffer_store_dword v5, off, s[60:63], 0 offset:560 ; 4-byte Folded Spill
	v_fma_f64 v[4:5], v[62:63], s[38:39], v[4:5]
	v_add_f64 v[0:1], v[4:5], v[0:1]
	v_mul_f64 v[4:5], v[246:247], s[46:47]
	buffer_store_dword v4, off, s[60:63], 0 offset:548 ; 4-byte Folded Spill
	buffer_store_dword v5, off, s[60:63], 0 offset:552 ; 4-byte Folded Spill
	;; [unrolled: 1-line block ×6, first 2 shown]
	v_fma_f64 v[4:5], v[92:93], s[40:41], -v[4:5]
	v_add_f64 v[66:67], v[138:139], v[82:83]
	v_add_f64 v[138:139], v[244:245], -v[86:87]
	v_mov_b32_e32 v245, v63
	v_mov_b32_e32 v244, v62
	v_add_f64 v[250:251], v[4:5], v[2:3]
	v_mul_f64 v[2:3], v[66:67], s[40:41]
	v_mul_f64 v[4:5], v[28:29], s[12:13]
	buffer_store_dword v2, off, s[60:63], 0 offset:564 ; 4-byte Folded Spill
	buffer_store_dword v3, off, s[60:63], 0 offset:568 ; 4-byte Folded Spill
	v_fma_f64 v[2:3], v[138:139], s[46:47], v[2:3]
	v_add_f64 v[252:253], v[2:3], v[0:1]
	v_mul_f64 v[2:3], v[69:70], s[4:5]
	v_fma_f64 v[0:1], v[242:243], s[26:27], -v[50:51]
	buffer_store_dword v2, off, s[60:63], 0 offset:644 ; 4-byte Folded Spill
	buffer_store_dword v3, off, s[60:63], 0 offset:648 ; 4-byte Folded Spill
	;; [unrolled: 1-line block ×4, first 2 shown]
	v_add_f64 v[0:1], v[236:237], v[0:1]
	v_fma_f64 v[2:3], v[26:27], s[12:13], -v[2:3]
	v_fma_f64 v[4:5], v[94:95], s[4:5], v[4:5]
	v_add_f64 v[0:1], v[2:3], v[0:1]
	v_fma_f64 v[2:3], v[34:35], s[48:49], v[44:45]
	v_add_f64 v[2:3], v[238:239], v[2:3]
	v_add_f64 v[4:5], v[4:5], v[2:3]
	v_mul_f64 v[2:3], v[24:25], s[30:31]
	buffer_store_dword v2, off, s[60:63], 0 offset:628 ; 4-byte Folded Spill
	buffer_store_dword v3, off, s[60:63], 0 offset:632 ; 4-byte Folded Spill
	v_fma_f64 v[6:7], v[18:19], s[20:21], -v[2:3]
	v_mul_f64 v[2:3], v[20:21], s[20:21]
	buffer_store_dword v2, off, s[60:63], 0 offset:660 ; 4-byte Folded Spill
	buffer_store_dword v3, off, s[60:63], 0 offset:664 ; 4-byte Folded Spill
	v_add_f64 v[0:1], v[6:7], v[0:1]
	v_add_f64 v[8:9], v[8:9], v[0:1]
	v_mul_f64 v[0:1], v[134:135], s[28:29]
	buffer_store_dword v0, off, s[60:63], 0 offset:652 ; 4-byte Folded Spill
	buffer_store_dword v1, off, s[60:63], 0 offset:656 ; 4-byte Folded Spill
	v_fma_f64 v[6:7], v[152:153], s[30:31], v[2:3]
	v_mul_f64 v[2:3], v[96:97], s[16:17]
	v_add_f64 v[4:5], v[6:7], v[4:5]
	v_mul_f64 v[6:7], v[64:65], s[42:43]
	v_fma_f64 v[0:1], v[186:187], s[34:35], v[0:1]
	v_add_f64 v[10:11], v[0:1], v[4:5]
	v_mul_f64 v[0:1], v[42:43], s[44:45]
	buffer_store_dword v0, off, s[60:63], 0 offset:588 ; 4-byte Folded Spill
	buffer_store_dword v1, off, s[60:63], 0 offset:592 ; 4-byte Folded Spill
	v_fma_f64 v[4:5], v[156:157], s[2:3], -v[0:1]
	v_mul_f64 v[0:1], v[158:159], s[2:3]
	buffer_store_dword v0, off, s[60:63], 0 offset:612 ; 4-byte Folded Spill
	buffer_store_dword v1, off, s[60:63], 0 offset:616 ; 4-byte Folded Spill
	v_add_f64 v[8:9], v[4:5], v[8:9]
	v_mul_f64 v[4:5], v[66:67], s[24:25]
	v_fma_f64 v[36:37], v[240:241], s[44:45], v[0:1]
	v_mul_f64 v[0:1], v[254:255], s[40:41]
	buffer_store_dword v0, off, s[60:63], 0 offset:596 ; 4-byte Folded Spill
	buffer_store_dword v1, off, s[60:63], 0 offset:600 ; 4-byte Folded Spill
	v_add_f64 v[10:11], v[36:37], v[10:11]
	v_fma_f64 v[36:37], v[248:249], s[40:41], -v[6:7]
	s_waitcnt_vscnt null, 0x0
	s_barrier
	buffer_gl0_inv
	v_add_f64 v[8:9], v[36:37], v[8:9]
	v_mul_f64 v[36:37], v[136:137], s[18:19]
	v_fma_f64 v[60:61], v[58:59], s[42:43], v[0:1]
	v_mul_f64 v[0:1], v[246:247], s[50:51]
	v_add_f64 v[10:11], v[60:61], v[10:11]
	v_fma_f64 v[60:61], v[132:133], s[18:19], -v[2:3]
	v_add_f64 v[8:9], v[60:61], v[8:9]
	v_fma_f64 v[60:61], v[62:63], s[16:17], v[36:37]
	v_add_f64 v[10:11], v[60:61], v[10:11]
	v_fma_f64 v[60:61], v[92:93], s[24:25], -v[0:1]
	v_add_f64 v[60:61], v[60:61], v[8:9]
	v_fma_f64 v[8:9], v[138:139], s[50:51], v[4:5]
	v_add_f64 v[62:63], v[8:9], v[10:11]
	s_and_saveexec_b32 s33, s0
	s_cbranch_execz .LBB0_25
; %bb.24:
	v_mul_f64 v[8:9], v[34:35], s[22:23]
	buffer_store_dword v0, off, s[60:63], 0 offset:700 ; 4-byte Folded Spill
	buffer_store_dword v1, off, s[60:63], 0 offset:704 ; 4-byte Folded Spill
	v_mul_f64 v[0:1], v[94:95], s[46:47]
	buffer_store_dword v36, off, s[60:63], 0 offset:748 ; 4-byte Folded Spill
	buffer_store_dword v37, off, s[60:63], 0 offset:752 ; 4-byte Folded Spill
	;; [unrolled: 1-line block ×6, first 2 shown]
	v_mul_f64 v[30:31], v[69:70], s[46:47]
	buffer_store_dword v46, off, s[60:63], 0 offset:804 ; 4-byte Folded Spill
	buffer_store_dword v47, off, s[60:63], 0 offset:808 ; 4-byte Folded Spill
	;; [unrolled: 1-line block ×18, first 2 shown]
	s_mov_b32 s1, 0xbfeec746
	s_mov_b32 s0, s34
	;; [unrolled: 1-line block ×6, first 2 shown]
	v_fma_f64 v[10:11], v[32:33], s[20:21], v[8:9]
	v_fma_f64 v[36:37], v[28:29], s[40:41], v[0:1]
	v_fma_f64 v[0:1], v[28:29], s[40:41], -v[0:1]
	v_fma_f64 v[46:47], v[26:27], s[40:41], -v[30:31]
	v_add_f64 v[10:11], v[238:239], v[10:11]
	v_add_f64 v[10:11], v[36:37], v[10:11]
	v_mul_f64 v[36:37], v[184:185], s[22:23]
	v_fma_f64 v[4:5], v[242:243], s[20:21], -v[36:37]
	v_add_f64 v[4:5], v[236:237], v[4:5]
	v_add_f64 v[4:5], v[46:47], v[4:5]
	v_mul_f64 v[46:47], v[152:153], s[50:51]
	v_fma_f64 v[52:53], v[20:21], s[24:25], v[46:47]
	v_add_f64 v[10:11], v[52:53], v[10:11]
	v_mul_f64 v[52:53], v[24:25], s[50:51]
	v_fma_f64 v[14:15], v[18:19], s[24:25], -v[52:53]
	v_add_f64 v[4:5], v[14:15], v[4:5]
	v_mul_f64 v[14:15], v[186:187], s[44:45]
	v_fma_f64 v[54:55], v[134:135], s[2:3], v[14:15]
	v_add_f64 v[10:11], v[54:55], v[10:11]
	v_mul_f64 v[54:55], v[88:89], s[44:45]
	v_fma_f64 v[74:75], v[102:103], s[2:3], -v[54:55]
	;; [unrolled: 6-line block ×3, first 2 shown]
	v_add_f64 v[4:5], v[6:7], v[4:5]
	v_mul_f64 v[6:7], v[58:59], s[38:39]
	v_fma_f64 v[22:23], v[254:255], s[26:27], v[6:7]
	v_fma_f64 v[6:7], v[254:255], s[26:27], -v[6:7]
	v_add_f64 v[10:11], v[22:23], v[10:11]
	v_mul_f64 v[22:23], v[64:65], s[38:39]
	v_fma_f64 v[2:3], v[248:249], s[26:27], -v[22:23]
	v_add_f64 v[2:3], v[2:3], v[4:5]
	v_mul_f64 v[4:5], v[244:245], s[0:1]
	buffer_store_dword v244, off, s[60:63], 0 offset:900 ; 4-byte Folded Spill
	buffer_store_dword v245, off, s[60:63], 0 offset:904 ; 4-byte Folded Spill
	;; [unrolled: 1-line block ×10, first 2 shown]
	v_fma_f64 v[40:41], v[136:137], s[28:29], v[4:5]
	v_fma_f64 v[4:5], v[136:137], s[28:29], -v[4:5]
	v_add_f64 v[10:11], v[40:41], v[10:11]
	v_mul_f64 v[40:41], v[96:97], s[0:1]
	v_fma_f64 v[100:101], v[132:133], s[28:29], -v[40:41]
	v_add_f64 v[2:3], v[100:101], v[2:3]
	v_mul_f64 v[100:101], v[138:139], s[54:55]
	v_fma_f64 v[16:17], v[66:67], s[18:19], v[100:101]
	v_add_f64 v[80:81], v[16:17], v[10:11]
	v_mul_f64 v[10:11], v[246:247], s[54:55]
	v_fma_f64 v[16:17], v[92:93], s[18:19], -v[10:11]
	v_add_f64 v[78:79], v[16:17], v[2:3]
	v_fma_f64 v[2:3], v[32:33], s[20:21], -v[8:9]
	v_fma_f64 v[8:9], v[26:27], s[40:41], v[30:31]
	buffer_store_dword v78, off, s[60:63], 0 offset:708 ; 4-byte Folded Spill
	buffer_store_dword v79, off, s[60:63], 0 offset:712 ; 4-byte Folded Spill
	;; [unrolled: 1-line block ×4, first 2 shown]
	v_add_f64 v[2:3], v[238:239], v[2:3]
	v_add_f64 v[0:1], v[0:1], v[2:3]
	v_fma_f64 v[2:3], v[242:243], s[20:21], v[36:37]
	v_add_f64 v[2:3], v[236:237], v[2:3]
	v_add_f64 v[2:3], v[8:9], v[2:3]
	v_fma_f64 v[8:9], v[20:21], s[24:25], -v[46:47]
	v_add_f64 v[0:1], v[8:9], v[0:1]
	v_fma_f64 v[8:9], v[18:19], s[24:25], v[52:53]
	v_add_f64 v[2:3], v[8:9], v[2:3]
	v_fma_f64 v[8:9], v[134:135], s[2:3], -v[14:15]
	v_add_f64 v[0:1], v[8:9], v[0:1]
	v_fma_f64 v[8:9], v[102:103], s[2:3], v[54:55]
	;; [unrolled: 4-line block ×3, first 2 shown]
	v_add_f64 v[0:1], v[6:7], v[0:1]
	v_add_f64 v[2:3], v[8:9], v[2:3]
	v_fma_f64 v[6:7], v[248:249], s[26:27], v[22:23]
	v_add_f64 v[0:1], v[4:5], v[0:1]
	v_fma_f64 v[4:5], v[132:133], s[28:29], v[40:41]
	;; [unrolled: 2-line block ×3, first 2 shown]
	v_mul_f64 v[10:11], v[69:70], s[38:39]
	v_add_f64 v[2:3], v[4:5], v[2:3]
	v_fma_f64 v[4:5], v[66:67], s[18:19], -v[100:101]
	v_fma_f64 v[14:15], v[26:27], s[26:27], -v[10:11]
	v_add_f64 v[2:3], v[6:7], v[2:3]
	v_add_f64 v[4:5], v[4:5], v[0:1]
	v_mul_f64 v[0:1], v[34:35], s[50:51]
	buffer_store_dword v2, off, s[60:63], 0 offset:812 ; 4-byte Folded Spill
	buffer_store_dword v3, off, s[60:63], 0 offset:816 ; 4-byte Folded Spill
	;; [unrolled: 1-line block ×4, first 2 shown]
	v_fma_f64 v[2:3], v[32:33], s[24:25], v[0:1]
	v_mul_f64 v[4:5], v[94:95], s[38:39]
	v_fma_f64 v[0:1], v[32:33], s[24:25], -v[0:1]
	v_add_f64 v[2:3], v[238:239], v[2:3]
	v_fma_f64 v[6:7], v[28:29], s[26:27], v[4:5]
	v_fma_f64 v[4:5], v[28:29], s[26:27], -v[4:5]
	v_add_f64 v[0:1], v[238:239], v[0:1]
	v_add_f64 v[2:3], v[6:7], v[2:3]
	v_mul_f64 v[6:7], v[184:185], s[50:51]
	v_add_f64 v[0:1], v[4:5], v[0:1]
	v_fma_f64 v[8:9], v[242:243], s[24:25], -v[6:7]
	v_fma_f64 v[4:5], v[242:243], s[24:25], v[6:7]
	v_fma_f64 v[6:7], v[26:27], s[26:27], v[10:11]
	v_mul_f64 v[10:11], v[152:153], s[42:43]
	v_add_f64 v[8:9], v[236:237], v[8:9]
	v_add_f64 v[4:5], v[236:237], v[4:5]
	;; [unrolled: 1-line block ×3, first 2 shown]
	v_mul_f64 v[14:15], v[152:153], s[16:17]
	v_add_f64 v[4:5], v[6:7], v[4:5]
	v_fma_f64 v[16:17], v[20:21], s[18:19], v[14:15]
	v_fma_f64 v[6:7], v[20:21], s[18:19], -v[14:15]
	v_mul_f64 v[14:15], v[34:35], s[4:5]
	v_add_f64 v[2:3], v[16:17], v[2:3]
	v_mul_f64 v[16:17], v[24:25], s[16:17]
	v_add_f64 v[0:1], v[6:7], v[0:1]
	v_fma_f64 v[22:23], v[18:19], s[18:19], -v[16:17]
	v_fma_f64 v[6:7], v[18:19], s[18:19], v[16:17]
	v_mul_f64 v[16:17], v[34:35], s[16:17]
	v_add_f64 v[8:9], v[22:23], v[8:9]
	v_mul_f64 v[22:23], v[186:187], s[52:53]
	v_add_f64 v[4:5], v[6:7], v[4:5]
	v_fma_f64 v[30:31], v[134:135], s[12:13], v[22:23]
	v_fma_f64 v[6:7], v[134:135], s[12:13], -v[22:23]
	v_mul_f64 v[22:23], v[34:35], s[42:43]
	v_add_f64 v[2:3], v[30:31], v[2:3]
	v_mul_f64 v[30:31], v[88:89], s[52:53]
	v_add_f64 v[0:1], v[6:7], v[0:1]
	v_fma_f64 v[36:37], v[102:103], s[12:13], -v[30:31]
	v_fma_f64 v[6:7], v[102:103], s[12:13], v[30:31]
	v_mul_f64 v[30:31], v[34:35], s[0:1]
	v_add_f64 v[8:9], v[36:37], v[8:9]
	v_mul_f64 v[36:37], v[240:241], s[42:43]
	v_add_f64 v[4:5], v[6:7], v[4:5]
	v_fma_f64 v[40:41], v[158:159], s[40:41], v[36:37]
	v_fma_f64 v[6:7], v[158:159], s[40:41], -v[36:37]
	v_fma_f64 v[36:37], v[32:33], s[18:19], v[16:17]
	v_fma_f64 v[16:17], v[32:33], s[18:19], -v[16:17]
	v_add_f64 v[2:3], v[40:41], v[2:3]
	v_mul_f64 v[40:41], v[42:43], s[42:43]
	v_add_f64 v[0:1], v[6:7], v[0:1]
	v_add_f64 v[36:37], v[238:239], v[36:37]
	;; [unrolled: 1-line block ×3, first 2 shown]
	v_fma_f64 v[46:47], v[156:157], s[40:41], -v[40:41]
	v_fma_f64 v[6:7], v[156:157], s[40:41], v[40:41]
	v_fma_f64 v[40:41], v[32:33], s[40:41], v[22:23]
	v_fma_f64 v[22:23], v[32:33], s[40:41], -v[22:23]
	v_add_f64 v[8:9], v[46:47], v[8:9]
	v_mul_f64 v[46:47], v[58:59], s[22:23]
	v_add_f64 v[4:5], v[6:7], v[4:5]
	v_add_f64 v[40:41], v[238:239], v[40:41]
	;; [unrolled: 1-line block ×3, first 2 shown]
	v_fma_f64 v[52:53], v[254:255], s[20:21], v[46:47]
	v_fma_f64 v[6:7], v[254:255], s[20:21], -v[46:47]
	v_mul_f64 v[46:47], v[184:185], s[0:1]
	v_add_f64 v[2:3], v[52:53], v[2:3]
	v_mul_f64 v[52:53], v[64:65], s[22:23]
	v_add_f64 v[0:1], v[6:7], v[0:1]
	v_fma_f64 v[54:55], v[248:249], s[20:21], -v[52:53]
	v_fma_f64 v[6:7], v[248:249], s[20:21], v[52:53]
	v_mul_f64 v[52:53], v[184:185], s[42:43]
	v_add_f64 v[8:9], v[54:55], v[8:9]
	v_mul_f64 v[54:55], v[244:245], s[44:45]
	v_add_f64 v[4:5], v[6:7], v[4:5]
	v_mov_b32_e32 v245, v155
	v_mov_b32_e32 v244, v154
	v_fma_f64 v[74:75], v[136:137], s[2:3], v[54:55]
	v_fma_f64 v[6:7], v[136:137], s[2:3], -v[54:55]
	v_add_f64 v[2:3], v[74:75], v[2:3]
	v_mul_f64 v[74:75], v[96:97], s[44:45]
	v_add_f64 v[0:1], v[6:7], v[0:1]
	v_fma_f64 v[76:77], v[132:133], s[2:3], -v[74:75]
	v_fma_f64 v[6:7], v[132:133], s[2:3], v[74:75]
	v_fma_f64 v[74:75], v[242:243], s[28:29], -v[46:47]
	v_fma_f64 v[46:47], v[242:243], s[28:29], v[46:47]
	v_add_f64 v[8:9], v[76:77], v[8:9]
	v_mul_f64 v[76:77], v[138:139], s[0:1]
	v_add_f64 v[4:5], v[6:7], v[4:5]
	v_add_f64 v[74:75], v[236:237], v[74:75]
	;; [unrolled: 1-line block ×3, first 2 shown]
	v_fma_f64 v[100:101], v[66:67], s[28:29], v[76:77]
	v_fma_f64 v[6:7], v[66:67], s[28:29], -v[76:77]
	v_add_f64 v[80:81], v[100:101], v[2:3]
	v_mul_f64 v[2:3], v[246:247], s[0:1]
	v_add_f64 v[6:7], v[6:7], v[0:1]
	v_mul_f64 v[0:1], v[34:35], s[48:49]
	v_fma_f64 v[100:101], v[92:93], s[28:29], -v[2:3]
	v_fma_f64 v[2:3], v[92:93], s[28:29], v[2:3]
	v_add_f64 v[0:1], v[44:45], -v[0:1]
	v_fma_f64 v[44:45], v[32:33], s[28:29], v[30:31]
	v_fma_f64 v[30:31], v[32:33], s[28:29], -v[30:31]
	v_add_f64 v[78:79], v[100:101], v[8:9]
	v_add_f64 v[4:5], v[2:3], v[4:5]
	buffer_store_dword v78, off, s[60:63], 0 offset:844 ; 4-byte Folded Spill
	buffer_store_dword v79, off, s[60:63], 0 offset:848 ; 4-byte Folded Spill
	;; [unrolled: 1-line block ×8, first 2 shown]
	s_clause 0x3
	buffer_load_dword v6, off, s[60:63], 0 offset:580
	buffer_load_dword v7, off, s[60:63], 0 offset:584
	;; [unrolled: 1-line block ×4, first 2 shown]
	v_mul_f64 v[4:5], v[34:35], s[14:15]
	v_mul_f64 v[2:3], v[242:243], s[26:27]
	v_fma_f64 v[34:35], v[32:33], s[12:13], v[14:15]
	v_fma_f64 v[14:15], v[32:33], s[12:13], -v[14:15]
	v_mul_f64 v[32:33], v[184:185], s[4:5]
	v_fma_f64 v[100:101], v[242:243], s[40:41], -v[52:53]
	v_fma_f64 v[52:53], v[242:243], s[40:41], v[52:53]
	v_add_f64 v[44:45], v[238:239], v[44:45]
	v_add_f64 v[30:31], v[238:239], v[30:31]
	;; [unrolled: 1-line block ×3, first 2 shown]
	v_mov_b32_e32 v81, v43
	v_mov_b32_e32 v80, v42
	v_add_f64 v[2:3], v[2:3], v[50:51]
	v_mul_f64 v[50:51], v[184:185], s[16:17]
	v_add_f64 v[34:35], v[238:239], v[34:35]
	v_fma_f64 v[54:55], v[242:243], s[12:13], -v[32:33]
	v_fma_f64 v[32:33], v[242:243], s[12:13], v[32:33]
	v_add_f64 v[52:53], v[236:237], v[52:53]
	v_add_f64 v[14:15], v[238:239], v[14:15]
	v_add_f64 v[2:3], v[236:237], v[2:3]
	v_fma_f64 v[76:77], v[242:243], s[18:19], -v[50:51]
	v_fma_f64 v[50:51], v[242:243], s[18:19], v[50:51]
	v_add_f64 v[54:55], v[236:237], v[54:55]
	v_add_f64 v[32:33], v[236:237], v[32:33]
	;; [unrolled: 1-line block ×4, first 2 shown]
	s_waitcnt vmcnt(2)
	v_add_f64 v[4:5], v[6:7], -v[4:5]
	v_mul_f64 v[6:7], v[242:243], s[2:3]
	v_add_f64 v[242:243], v[236:237], v[84:85]
	v_add_f64 v[4:5], v[238:239], v[4:5]
	s_waitcnt vmcnt(0)
	v_add_f64 v[6:7], v[6:7], v[8:9]
	s_clause 0x1
	buffer_load_dword v8, off, s[60:63], 0 offset:380
	buffer_load_dword v9, off, s[60:63], 0 offset:384
	v_add_f64 v[6:7], v[236:237], v[6:7]
	s_waitcnt vmcnt(0)
	v_add_f64 v[184:185], v[238:239], v[8:9]
	v_add_f64 v[8:9], v[236:237], v[100:101]
	v_mul_f64 v[236:237], v[94:95], s[34:35]
	buffer_store_dword v8, off, s[60:63], 0 offset:924 ; 4-byte Folded Spill
	buffer_store_dword v9, off, s[60:63], 0 offset:928 ; 4-byte Folded Spill
	v_fma_f64 v[238:239], v[28:29], s[28:29], v[236:237]
	buffer_store_dword v56, off, s[60:63], 0 offset:916 ; 4-byte Folded Spill
	buffer_store_dword v57, off, s[60:63], 0 offset:920 ; 4-byte Folded Spill
	;; [unrolled: 1-line block ×6, first 2 shown]
	s_clause 0x1
	buffer_load_dword v78, off, s[60:63], 0 offset:900
	buffer_load_dword v79, off, s[60:63], 0 offset:904
	v_mov_b32_e32 v98, v148
	v_mov_b32_e32 v99, v149
	;; [unrolled: 1-line block ×16, first 2 shown]
	v_add_f64 v[34:35], v[238:239], v[34:35]
	v_mul_f64 v[238:239], v[69:70], s[34:35]
	v_fma_f64 v[8:9], v[26:27], s[28:29], -v[238:239]
	v_add_f64 v[8:9], v[8:9], v[54:55]
	v_fma_f64 v[54:55], v[20:21], s[40:41], v[10:11]
	v_fma_f64 v[10:11], v[20:21], s[40:41], -v[10:11]
	v_add_f64 v[34:35], v[54:55], v[34:35]
	v_fma_f64 v[54:55], v[28:29], s[28:29], -v[236:237]
	v_add_f64 v[14:15], v[54:55], v[14:15]
	v_mul_f64 v[54:55], v[186:187], s[50:51]
	v_add_f64 v[10:11], v[10:11], v[14:15]
	v_fma_f64 v[236:237], v[134:135], s[24:25], v[54:55]
	v_mul_f64 v[14:15], v[240:241], s[54:55]
	v_add_f64 v[34:35], v[236:237], v[34:35]
	v_mul_f64 v[236:237], v[24:25], s[42:43]
	v_fma_f64 v[48:49], v[18:19], s[40:41], -v[236:237]
	v_add_f64 v[8:9], v[48:49], v[8:9]
	v_fma_f64 v[48:49], v[158:159], s[18:19], v[14:15]
	v_fma_f64 v[14:15], v[158:159], s[18:19], -v[14:15]
	v_add_f64 v[34:35], v[48:49], v[34:35]
	v_mul_f64 v[48:49], v[88:89], s[50:51]
	v_fma_f64 v[38:39], v[102:103], s[24:25], -v[48:49]
	v_add_f64 v[8:9], v[38:39], v[8:9]
	v_fma_f64 v[38:39], v[134:135], s[24:25], -v[54:55]
	v_add_f64 v[10:11], v[38:39], v[10:11]
	v_mul_f64 v[38:39], v[58:59], s[14:15]
	v_add_f64 v[10:11], v[14:15], v[10:11]
	v_fma_f64 v[54:55], v[254:255], s[2:3], v[38:39]
	v_mul_f64 v[14:15], v[140:141], s[14:15]
	v_add_f64 v[34:35], v[54:55], v[34:35]
	v_mul_f64 v[54:55], v[80:81], s[54:55]
	v_fma_f64 v[42:43], v[156:157], s[18:19], -v[54:55]
	v_add_f64 v[8:9], v[42:43], v[8:9]
	v_fma_f64 v[42:43], v[248:249], s[2:3], -v[14:15]
	v_fma_f64 v[14:15], v[248:249], s[2:3], v[14:15]
	v_add_f64 v[8:9], v[42:43], v[8:9]
	s_waitcnt vmcnt(0)
	v_mul_f64 v[42:43], v[78:79], s[22:23]
	v_fma_f64 v[12:13], v[136:137], s[20:21], v[42:43]
	v_add_f64 v[12:13], v[12:13], v[34:35]
	v_fma_f64 v[34:35], v[254:255], s[2:3], -v[38:39]
	buffer_store_dword v12, off, s[60:63], 0 offset:380 ; 4-byte Folded Spill
	buffer_store_dword v13, off, s[60:63], 0 offset:384 ; 4-byte Folded Spill
	v_add_f64 v[10:11], v[34:35], v[10:11]
	v_mul_f64 v[34:35], v[96:97], s[22:23]
	v_mov_b32_e32 v12, v80
	v_mov_b32_e32 v13, v81
	v_fma_f64 v[38:39], v[132:133], s[20:21], -v[34:35]
	v_fma_f64 v[34:35], v[132:133], s[20:21], v[34:35]
	v_add_f64 v[154:155], v[38:39], v[8:9]
	v_fma_f64 v[38:39], v[136:137], s[20:21], -v[42:43]
	v_add_f64 v[8:9], v[38:39], v[10:11]
	v_fma_f64 v[38:39], v[26:27], s[28:29], v[238:239]
	buffer_store_dword v8, off, s[60:63], 0 offset:572 ; 4-byte Folded Spill
	buffer_store_dword v9, off, s[60:63], 0 offset:576 ; 4-byte Folded Spill
	v_add_f64 v[32:33], v[38:39], v[32:33]
	v_fma_f64 v[38:39], v[18:19], s[40:41], v[236:237]
	v_mov_b32_e32 v8, v78
	v_mov_b32_e32 v9, v79
	;; [unrolled: 1-line block ×4, first 2 shown]
	v_add_f64 v[32:33], v[38:39], v[32:33]
	v_mul_f64 v[38:39], v[94:95], s[36:37]
	v_fma_f64 v[42:43], v[28:29], s[24:25], v[38:39]
	v_fma_f64 v[38:39], v[28:29], s[24:25], -v[38:39]
	v_add_f64 v[42:43], v[42:43], v[44:45]
	v_fma_f64 v[44:45], v[102:103], s[24:25], v[48:49]
	v_add_f64 v[30:31], v[38:39], v[30:31]
	v_add_f64 v[32:33], v[44:45], v[32:33]
	v_mul_f64 v[44:45], v[152:153], s[44:45]
	v_fma_f64 v[48:49], v[20:21], s[2:3], v[44:45]
	v_fma_f64 v[38:39], v[20:21], s[2:3], -v[44:45]
	v_add_f64 v[42:43], v[48:49], v[42:43]
	v_fma_f64 v[48:49], v[156:157], s[18:19], v[54:55]
	v_add_f64 v[30:31], v[38:39], v[30:31]
	v_add_f64 v[32:33], v[48:49], v[32:33]
	v_mul_f64 v[48:49], v[186:187], s[48:49]
	v_add_f64 v[14:15], v[14:15], v[32:33]
	v_fma_f64 v[54:55], v[134:135], s[26:27], v[48:49]
	v_mul_f64 v[32:33], v[240:241], s[22:23]
	v_fma_f64 v[38:39], v[134:135], s[26:27], -v[48:49]
	v_add_f64 v[42:43], v[54:55], v[42:43]
	v_fma_f64 v[54:55], v[158:159], s[20:21], v[32:33]
	v_add_f64 v[30:31], v[38:39], v[30:31]
	v_fma_f64 v[32:33], v[158:159], s[20:21], -v[32:33]
	v_add_f64 v[42:43], v[54:55], v[42:43]
	v_add_f64 v[54:55], v[34:35], v[14:15]
	v_mul_f64 v[14:15], v[58:59], s[54:55]
	v_add_f64 v[30:31], v[32:33], v[30:31]
	v_fma_f64 v[34:35], v[254:255], s[18:19], v[14:15]
	v_fma_f64 v[14:15], v[254:255], s[18:19], -v[14:15]
	v_add_f64 v[34:35], v[34:35], v[42:43]
	v_mul_f64 v[42:43], v[78:79], s[42:43]
	v_add_f64 v[14:15], v[14:15], v[30:31]
	v_fma_f64 v[236:237], v[136:137], s[40:41], v[42:43]
	v_fma_f64 v[38:39], v[136:137], s[40:41], -v[42:43]
	v_add_f64 v[236:237], v[236:237], v[34:35]
	v_mul_f64 v[34:35], v[69:70], s[36:37]
	v_add_f64 v[14:15], v[38:39], v[14:15]
	v_fma_f64 v[238:239], v[26:27], s[24:25], -v[34:35]
	v_fma_f64 v[32:33], v[26:27], s[24:25], v[34:35]
	v_add_f64 v[74:75], v[238:239], v[74:75]
	v_mul_f64 v[238:239], v[24:25], s[44:45]
	v_add_f64 v[32:33], v[32:33], v[46:47]
	v_fma_f64 v[72:73], v[18:19], s[2:3], -v[238:239]
	v_fma_f64 v[34:35], v[18:19], s[2:3], v[238:239]
	v_mov_b32_e32 v239, v13
	v_mov_b32_e32 v238, v12
	v_add_f64 v[72:73], v[72:73], v[74:75]
	v_mul_f64 v[74:75], v[88:89], s[48:49]
	v_add_f64 v[32:33], v[34:35], v[32:33]
	v_fma_f64 v[78:79], v[102:103], s[26:27], -v[74:75]
	v_fma_f64 v[30:31], v[102:103], s[26:27], v[74:75]
	v_mul_f64 v[74:75], v[24:25], s[34:35]
	v_mul_f64 v[24:25], v[24:25], s[48:49]
	v_add_f64 v[72:73], v[78:79], v[72:73]
	v_mul_f64 v[78:79], v[12:13], s[22:23]
	v_add_f64 v[30:31], v[30:31], v[32:33]
	v_mul_f64 v[32:33], v[140:141], s[54:55]
	v_fma_f64 v[38:39], v[156:157], s[20:21], v[78:79]
	v_fma_f64 v[80:81], v[156:157], s[20:21], -v[78:79]
	v_fma_f64 v[34:35], v[248:249], s[18:19], -v[32:33]
	v_fma_f64 v[32:33], v[248:249], s[18:19], v[32:33]
	v_add_f64 v[30:31], v[38:39], v[30:31]
	v_add_f64 v[72:73], v[80:81], v[72:73]
	;; [unrolled: 1-line block ×3, first 2 shown]
	v_mul_f64 v[32:33], v[94:95], s[22:23]
	v_add_f64 v[34:35], v[34:35], v[72:73]
	v_fma_f64 v[38:39], v[28:29], s[20:21], v[32:33]
	v_fma_f64 v[32:33], v[28:29], s[20:21], -v[32:33]
	v_add_f64 v[36:37], v[38:39], v[36:37]
	v_mul_f64 v[38:39], v[152:153], s[34:35]
	v_add_f64 v[16:17], v[32:33], v[16:17]
	v_fma_f64 v[42:43], v[20:21], s[28:29], v[38:39]
	v_fma_f64 v[32:33], v[20:21], s[28:29], -v[38:39]
	v_add_f64 v[36:37], v[42:43], v[36:37]
	v_mul_f64 v[42:43], v[186:187], s[46:47]
	v_add_f64 v[16:17], v[32:33], v[16:17]
	s_clause 0x1
	buffer_load_dword v32, off, s[60:63], 0 offset:316
	buffer_load_dword v33, off, s[60:63], 0 offset:320
	v_fma_f64 v[44:45], v[134:135], s[40:41], v[42:43]
	v_fma_f64 v[42:43], v[134:135], s[40:41], -v[42:43]
	v_add_f64 v[36:37], v[44:45], v[36:37]
	v_mul_f64 v[44:45], v[240:241], s[48:49]
	v_add_f64 v[16:17], v[42:43], v[16:17]
	v_fma_f64 v[46:47], v[158:159], s[26:27], v[44:45]
	v_add_f64 v[36:37], v[46:47], v[36:37]
	v_mul_f64 v[46:47], v[58:59], s[50:51]
	v_fma_f64 v[48:49], v[254:255], s[24:25], v[46:47]
	v_add_f64 v[36:37], v[48:49], v[36:37]
	v_mul_f64 v[48:49], v[69:70], s[22:23]
	v_fma_f64 v[72:73], v[26:27], s[20:21], -v[48:49]
	v_add_f64 v[72:73], v[72:73], v[76:77]
	v_fma_f64 v[76:77], v[18:19], s[28:29], -v[74:75]
	v_add_f64 v[72:73], v[76:77], v[72:73]
	v_mul_f64 v[76:77], v[88:89], s[46:47]
	v_fma_f64 v[78:79], v[102:103], s[40:41], -v[76:77]
	v_add_f64 v[72:73], v[78:79], v[72:73]
	v_mul_f64 v[78:79], v[12:13], s[48:49]
	s_clause 0x3
	buffer_load_dword v12, off, s[60:63], 0 offset:860
	buffer_load_dword v13, off, s[60:63], 0 offset:864
	;; [unrolled: 1-line block ×4, first 2 shown]
	v_fma_f64 v[80:81], v[156:157], s[26:27], -v[78:79]
	v_add_f64 v[72:73], v[80:81], v[72:73]
	s_waitcnt vmcnt(4)
	v_add_f64 v[32:33], v[184:185], v[32:33]
	v_mul_f64 v[184:185], v[26:27], s[12:13]
	s_waitcnt vmcnt(2)
	v_add_f64 v[38:39], v[242:243], v[12:13]
	s_waitcnt vmcnt(0)
	v_add_f64 v[32:33], v[32:33], v[42:43]
	s_clause 0x1
	buffer_load_dword v42, off, s[60:63], 0 offset:492
	buffer_load_dword v43, off, s[60:63], 0 offset:496
	s_waitcnt vmcnt(0)
	v_add_f64 v[38:39], v[38:39], v[42:43]
	v_fma_f64 v[42:43], v[158:159], s[26:27], -v[44:45]
	v_add_f64 v[16:17], v[42:43], v[16:17]
	s_clause 0x1
	buffer_load_dword v42, off, s[60:63], 0 offset:524
	buffer_load_dword v43, off, s[60:63], 0 offset:528
	s_waitcnt vmcnt(0)
	v_add_f64 v[32:33], v[32:33], v[42:43]
	s_clause 0x5
	buffer_load_dword v42, off, s[60:63], 0 offset:516
	buffer_load_dword v43, off, s[60:63], 0 offset:520
	;; [unrolled: 1-line block ×6, first 2 shown]
	s_waitcnt vmcnt(4)
	v_add_f64 v[38:39], v[38:39], v[42:43]
	v_mul_f64 v[42:43], v[94:95], s[4:5]
	s_waitcnt vmcnt(0)
	v_add_f64 v[32:33], v[32:33], v[44:45]
	s_clause 0x1
	buffer_load_dword v44, off, s[60:63], 0 offset:268
	buffer_load_dword v45, off, s[60:63], 0 offset:272
	v_add_f64 v[42:43], v[12:13], -v[42:43]
	s_clause 0x1
	buffer_load_dword v12, off, s[60:63], 0 offset:660
	buffer_load_dword v13, off, s[60:63], 0 offset:664
	v_add_f64 v[0:1], v[42:43], v[0:1]
	v_fma_f64 v[42:43], v[254:255], s[24:25], -v[46:47]
	v_mul_f64 v[46:47], v[186:187], s[34:35]
	v_add_f64 v[16:17], v[42:43], v[16:17]
	v_fma_f64 v[42:43], v[26:27], s[20:21], v[48:49]
	v_mul_f64 v[48:49], v[18:19], s[20:21]
	v_add_f64 v[42:43], v[42:43], v[50:51]
	v_mul_f64 v[50:51], v[94:95], s[16:17]
	s_waitcnt vmcnt(2)
	v_add_f64 v[38:39], v[38:39], v[44:45]
	v_mul_f64 v[44:45], v[140:141], s[50:51]
	v_fma_f64 v[80:81], v[248:249], s[24:25], -v[44:45]
	v_fma_f64 v[44:45], v[248:249], s[24:25], v[44:45]
	v_add_f64 v[72:73], v[80:81], v[72:73]
	v_mul_f64 v[80:81], v[152:153], s[30:31]
	s_waitcnt vmcnt(0)
	v_add_f64 v[80:81], v[12:13], -v[80:81]
	s_clause 0x3
	buffer_load_dword v12, off, s[60:63], 0 offset:644
	buffer_load_dword v13, off, s[60:63], 0 offset:648
	;; [unrolled: 1-line block ×4, first 2 shown]
	v_add_f64 v[0:1], v[80:81], v[0:1]
	v_mul_f64 v[80:81], v[26:27], s[18:19]
	s_waitcnt vmcnt(2)
	v_add_f64 v[184:185], v[184:185], v[12:13]
	s_waitcnt vmcnt(0)
	v_add_f64 v[32:33], v[32:33], v[90:91]
	s_clause 0x3
	buffer_load_dword v90, off, s[60:63], 0 offset:332
	buffer_load_dword v91, off, s[60:63], 0 offset:336
	;; [unrolled: 1-line block ×4, first 2 shown]
	v_add_f64 v[2:3], v[184:185], v[2:3]
	v_mul_f64 v[184:185], v[152:153], s[4:5]
	v_add_f64 v[184:185], v[146:147], -v[184:185]
	s_waitcnt vmcnt(2)
	v_add_f64 v[38:39], v[38:39], v[90:91]
	s_waitcnt vmcnt(0)
	v_add_f64 v[46:47], v[12:13], -v[46:47]
	s_clause 0x1
	buffer_load_dword v12, off, s[60:63], 0 offset:628
	buffer_load_dword v13, off, s[60:63], 0 offset:632
	v_add_f64 v[0:1], v[46:47], v[0:1]
	v_mul_f64 v[46:47], v[240:241], s[36:37]
	s_waitcnt vmcnt(0)
	v_add_f64 v[48:49], v[48:49], v[12:13]
	s_clause 0x1
	buffer_load_dword v12, off, s[60:63], 0 offset:676
	buffer_load_dword v13, off, s[60:63], 0 offset:680
	v_add_f64 v[2:3], v[48:49], v[2:3]
	v_mul_f64 v[48:49], v[18:19], s[12:13]
	s_waitcnt vmcnt(0)
	v_add_f64 v[50:51], v[12:13], -v[50:51]
	s_clause 0x3
	buffer_load_dword v12, off, s[60:63], 0 offset:892
	buffer_load_dword v13, off, s[60:63], 0 offset:896
	;; [unrolled: 1-line block ×4, first 2 shown]
	v_add_f64 v[4:5], v[50:51], v[4:5]
	v_mul_f64 v[50:51], v[186:187], s[22:23]
	v_add_f64 v[4:5], v[184:185], v[4:5]
	v_add_f64 v[50:51], v[64:65], -v[50:51]
	v_add_f64 v[4:5], v[50:51], v[4:5]
	s_waitcnt vmcnt(2)
	v_add_f64 v[32:33], v[32:33], v[12:13]
	s_waitcnt vmcnt(0)
	v_add_f64 v[38:39], v[38:39], v[84:85]
	s_clause 0x5
	buffer_load_dword v84, off, s[60:63], 0 offset:388
	buffer_load_dword v85, off, s[60:63], 0 offset:392
	;; [unrolled: 1-line block ×6, first 2 shown]
	s_waitcnt vmcnt(4)
	v_add_f64 v[80:81], v[80:81], v[84:85]
	v_mul_f64 v[84:85], v[102:103], s[28:29]
	s_waitcnt vmcnt(0)
	v_add_f64 v[32:33], v[32:33], v[90:91]
	s_clause 0x1
	buffer_load_dword v90, off, s[60:63], 0 offset:364
	buffer_load_dword v91, off, s[60:63], 0 offset:368
	v_add_f64 v[6:7], v[80:81], v[6:7]
	v_add_f64 v[84:85], v[84:85], v[12:13]
	s_clause 0x1
	buffer_load_dword v12, off, s[60:63], 0 offset:828
	buffer_load_dword v13, off, s[60:63], 0 offset:832
	v_add_f64 v[32:33], v[32:33], v[82:83]
	v_mul_f64 v[82:83], v[94:95], s[14:15]
	v_mul_f64 v[80:81], v[102:103], s[20:21]
	;; [unrolled: 1-line block ×3, first 2 shown]
	v_add_f64 v[2:3], v[84:85], v[2:3]
	v_mul_f64 v[84:85], v[92:93], s[24:25]
	v_add_f64 v[32:33], v[32:33], v[144:145]
	v_add_f64 v[80:81], v[80:81], v[244:245]
	s_waitcnt vmcnt(2)
	v_add_f64 v[38:39], v[38:39], v[90:91]
	s_waitcnt vmcnt(0)
	v_add_f64 v[48:49], v[48:49], v[12:13]
	s_clause 0x1
	buffer_load_dword v12, off, s[60:63], 0 offset:836
	buffer_load_dword v13, off, s[60:63], 0 offset:840
	v_add_f64 v[38:39], v[38:39], v[86:87]
	v_fma_f64 v[86:87], v[28:29], s[2:3], -v[82:83]
	v_fma_f64 v[28:29], v[28:29], s[2:3], v[82:83]
	v_add_f64 v[6:7], v[48:49], v[6:7]
	v_mul_f64 v[48:49], v[69:70], s[14:15]
	v_add_f64 v[22:23], v[86:87], v[22:23]
	v_add_f64 v[28:29], v[28:29], v[40:41]
	v_fma_f64 v[40:41], v[18:19], s[28:29], v[74:75]
	v_mul_f64 v[86:87], v[138:139], s[44:45]
	v_add_f64 v[6:7], v[80:81], v[6:7]
	v_fma_f64 v[69:70], v[26:27], s[2:3], v[48:49]
	v_fma_f64 v[26:27], v[26:27], s[2:3], -v[48:49]
	v_add_f64 v[40:41], v[40:41], v[42:43]
	v_mul_f64 v[42:43], v[240:241], s[44:45]
	v_add_f64 v[48:49], v[69:70], v[52:53]
	v_mul_f64 v[52:53], v[152:153], s[48:49]
	v_fma_f64 v[69:70], v[20:21], s[26:27], -v[52:53]
	v_fma_f64 v[20:21], v[20:21], s[26:27], v[52:53]
	v_fma_f64 v[52:53], v[18:19], s[26:27], v[24:25]
	v_fma_f64 v[18:19], v[18:19], s[26:27], -v[24:25]
	v_add_f64 v[22:23], v[69:70], v[22:23]
	v_add_f64 v[20:21], v[20:21], v[28:29]
	v_mul_f64 v[28:29], v[88:89], s[16:17]
	v_fma_f64 v[69:70], v[102:103], s[40:41], v[76:77]
	v_mul_f64 v[88:89], v[138:139], s[22:23]
	v_fma_f64 v[74:75], v[102:103], s[18:19], v[28:29]
	v_fma_f64 v[28:29], v[102:103], s[18:19], -v[28:29]
	v_add_f64 v[40:41], v[69:70], v[40:41]
	s_waitcnt vmcnt(0)
	v_add_f64 v[38:39], v[38:39], v[12:13]
	s_clause 0x1
	buffer_load_dword v12, off, s[60:63], 0 offset:924
	buffer_load_dword v13, off, s[60:63], 0 offset:928
	v_add_f64 v[38:39], v[38:39], v[142:143]
	s_waitcnt vmcnt(0)
	v_add_f64 v[24:25], v[26:27], v[12:13]
	s_clause 0x1
	buffer_load_dword v12, off, s[60:63], 0 offset:804
	buffer_load_dword v13, off, s[60:63], 0 offset:808
	v_add_f64 v[26:27], v[52:53], v[48:49]
	s_clause 0x1
	buffer_load_dword v48, off, s[60:63], 0 offset:612
	buffer_load_dword v49, off, s[60:63], 0 offset:616
	v_add_f64 v[18:19], v[18:19], v[24:25]
	v_add_f64 v[26:27], v[74:75], v[26:27]
	v_fma_f64 v[74:75], v[156:157], s[26:27], v[78:79]
	v_mul_f64 v[78:79], v[96:97], s[50:51]
	v_add_f64 v[18:19], v[28:29], v[18:19]
	v_fma_f64 v[82:83], v[132:133], s[24:25], v[78:79]
	v_fma_f64 v[78:79], v[132:133], s[24:25], -v[78:79]
	s_waitcnt vmcnt(2)
	v_add_f64 v[32:33], v[32:33], v[12:13]
	s_clause 0x3
	buffer_load_dword v12, off, s[60:63], 0 offset:916
	buffer_load_dword v13, off, s[60:63], 0 offset:920
	;; [unrolled: 1-line block ×4, first 2 shown]
	s_waitcnt vmcnt(4)
	v_add_f64 v[42:43], v[48:49], -v[42:43]
	v_mul_f64 v[48:49], v[156:157], s[24:25]
	v_add_f64 v[24:25], v[32:33], v[56:57]
	v_add_f64 v[0:1], v[42:43], v[0:1]
	v_mul_f64 v[42:43], v[58:59], s[34:35]
	s_waitcnt vmcnt(2)
	v_add_f64 v[46:47], v[12:13], -v[46:47]
	s_waitcnt vmcnt(0)
	v_add_f64 v[48:49], v[48:49], v[50:51]
	v_mul_f64 v[50:51], v[186:187], s[16:17]
	s_clause 0x1
	buffer_load_dword v12, off, s[60:63], 0 offset:908
	buffer_load_dword v13, off, s[60:63], 0 offset:912
	v_add_f64 v[4:5], v[46:47], v[4:5]
	v_mul_f64 v[46:47], v[248:249], s[28:29]
	v_fma_f64 v[52:53], v[134:135], s[18:19], -v[50:51]
	v_fma_f64 v[50:51], v[134:135], s[18:19], v[50:51]
	v_add_f64 v[6:7], v[48:49], v[6:7]
	v_mul_f64 v[48:49], v[240:241], s[0:1]
	v_add_f64 v[22:23], v[52:53], v[22:23]
	s_clause 0x3
	buffer_load_dword v52, off, s[60:63], 0 offset:588
	buffer_load_dword v53, off, s[60:63], 0 offset:592
	;; [unrolled: 1-line block ×4, first 2 shown]
	v_add_f64 v[20:21], v[50:51], v[20:21]
	v_mul_f64 v[50:51], v[238:239], s[0:1]
	v_fma_f64 v[69:70], v[158:159], s[28:29], -v[48:49]
	v_fma_f64 v[48:49], v[158:159], s[28:29], v[48:49]
	v_fma_f64 v[76:77], v[156:157], s[28:29], v[50:51]
	v_fma_f64 v[50:51], v[156:157], s[28:29], -v[50:51]
	v_add_f64 v[22:23], v[69:70], v[22:23]
	v_add_f64 v[20:21], v[48:49], v[20:21]
	v_mul_f64 v[48:49], v[140:141], s[4:5]
	v_mov_b32_e32 v140, v148
	v_mov_b32_e32 v141, v149
	;; [unrolled: 1-line block ×8, first 2 shown]
	v_fma_f64 v[98:99], v[66:67], s[2:3], -v[86:87]
	v_fma_f64 v[86:87], v[66:67], s[2:3], v[86:87]
	v_add_f64 v[26:27], v[76:77], v[26:27]
	v_add_f64 v[18:19], v[50:51], v[18:19]
	v_mul_f64 v[50:51], v[132:133], s[18:19]
	v_mul_f64 v[76:77], v[96:97], s[42:43]
	v_fma_f64 v[69:70], v[248:249], s[12:13], v[48:49]
	v_fma_f64 v[48:49], v[248:249], s[12:13], -v[48:49]
	v_add_f64 v[26:27], v[69:70], v[26:27]
	v_add_f64 v[48:49], v[48:49], v[18:19]
	v_mul_f64 v[18:19], v[138:139], s[38:39]
	v_add_f64 v[82:83], v[82:83], v[26:27]
	s_waitcnt vmcnt(4)
	v_add_f64 v[32:33], v[38:39], v[12:13]
	v_mul_f64 v[38:39], v[156:157], s[2:3]
	s_waitcnt vmcnt(2)
	v_add_f64 v[38:39], v[38:39], v[52:53]
	v_mul_f64 v[52:53], v[58:59], s[42:43]
	v_add_f64 v[2:3], v[38:39], v[2:3]
	s_waitcnt vmcnt(0)
	v_add_f64 v[52:53], v[56:57], -v[52:53]
	s_clause 0x3
	buffer_load_dword v56, off, s[60:63], 0 offset:532
	buffer_load_dword v57, off, s[60:63], 0 offset:536
	;; [unrolled: 1-line block ×4, first 2 shown]
	v_add_f64 v[38:39], v[74:75], v[40:41]
	v_mul_f64 v[40:41], v[8:9], s[16:17]
	v_mul_f64 v[74:75], v[8:9], s[50:51]
	v_add_f64 v[0:1], v[52:53], v[0:1]
	v_mul_f64 v[52:53], v[8:9], s[38:39]
	v_add_f64 v[38:39], v[44:45], v[38:39]
	v_mul_f64 v[44:45], v[138:139], s[46:47]
	v_fma_f64 v[80:81], v[136:137], s[24:25], -v[74:75]
	s_waitcnt vmcnt(2)
	v_add_f64 v[42:43], v[56:57], -v[42:43]
	s_waitcnt vmcnt(0)
	v_add_f64 v[46:47], v[46:47], v[12:13]
	s_clause 0x1
	buffer_load_dword v12, off, s[60:63], 0 offset:796
	buffer_load_dword v13, off, s[60:63], 0 offset:800
	v_add_f64 v[4:5], v[42:43], v[4:5]
	v_mul_f64 v[42:43], v[132:133], s[26:27]
	v_add_f64 v[6:7], v[46:47], v[6:7]
	v_mul_f64 v[46:47], v[58:59], s[4:5]
	v_fma_f64 v[64:65], v[254:255], s[12:13], -v[46:47]
	v_fma_f64 v[46:47], v[254:255], s[12:13], v[46:47]
	v_add_f64 v[22:23], v[64:65], v[22:23]
	v_mul_f64 v[64:65], v[8:9], s[52:53]
	v_add_f64 v[20:21], v[46:47], v[20:21]
	v_fma_f64 v[46:47], v[132:133], s[40:41], -v[76:77]
	v_add_f64 v[80:81], v[80:81], v[22:23]
	v_fma_f64 v[69:70], v[136:137], s[12:13], -v[64:65]
	v_mul_f64 v[22:23], v[246:247], s[38:39]
	v_add_f64 v[46:47], v[46:47], v[34:35]
	v_add_f64 v[16:17], v[69:70], v[16:17]
	v_mul_f64 v[69:70], v[92:93], s[40:41]
	v_fma_f64 v[100:101], v[92:93], s[26:27], v[22:23]
	s_waitcnt vmcnt(0)
	v_add_f64 v[24:25], v[24:25], v[12:13]
	s_clause 0x1
	buffer_load_dword v12, off, s[60:63], 0 offset:780
	buffer_load_dword v13, off, s[60:63], 0 offset:784
	s_waitcnt vmcnt(0)
	v_add_f64 v[28:29], v[32:33], v[12:13]
	s_clause 0x1
	buffer_load_dword v12, off, s[60:63], 0 offset:788
	buffer_load_dword v13, off, s[60:63], 0 offset:792
	v_mul_f64 v[32:33], v[248:249], s[40:41]
	s_waitcnt vmcnt(0)
	v_add_f64 v[32:33], v[32:33], v[12:13]
	s_clause 0x3
	buffer_load_dword v12, off, s[60:63], 0 offset:748
	buffer_load_dword v13, off, s[60:63], 0 offset:752
	;; [unrolled: 1-line block ×4, first 2 shown]
	v_add_f64 v[2:3], v[32:33], v[2:3]
	v_mul_f64 v[32:33], v[138:139], s[50:51]
	s_waitcnt vmcnt(2)
	v_add_f64 v[40:41], v[12:13], -v[40:41]
	s_waitcnt vmcnt(0)
	v_add_f64 v[52:53], v[56:57], -v[52:53]
	s_clause 0x3
	buffer_load_dword v56, off, s[60:63], 0 offset:540
	buffer_load_dword v57, off, s[60:63], 0 offset:544
	;; [unrolled: 1-line block ×4, first 2 shown]
	v_add_f64 v[0:1], v[40:41], v[0:1]
	v_mul_f64 v[40:41], v[96:97], s[52:53]
	v_add_f64 v[4:5], v[52:53], v[4:5]
	v_fma_f64 v[52:53], v[136:137], s[12:13], v[64:65]
	v_mul_f64 v[96:97], v[246:247], s[4:5]
	v_add_f64 v[52:53], v[52:53], v[36:37]
	v_fma_f64 v[36:37], v[92:93], s[2:3], v[94:95]
	v_fma_f64 v[94:95], v[92:93], s[2:3], -v[94:95]
	s_waitcnt vmcnt(2)
	v_add_f64 v[42:43], v[42:43], v[56:57]
	s_waitcnt vmcnt(0)
	v_add_f64 v[24:25], v[24:25], v[12:13]
	s_clause 0x1
	buffer_load_dword v12, off, s[60:63], 0 offset:764
	buffer_load_dword v13, off, s[60:63], 0 offset:768
	v_add_f64 v[42:43], v[42:43], v[6:7]
	v_mul_f64 v[6:7], v[138:139], s[4:5]
	v_add_f64 v[90:91], v[24:25], v[10:11]
	v_mul_f64 v[24:25], v[246:247], s[22:23]
	v_add_f64 v[10:11], v[78:79], v[48:49]
	v_fma_f64 v[26:27], v[66:67], s[12:13], -v[6:7]
	v_fma_f64 v[102:103], v[66:67], s[12:13], v[6:7]
	v_add_f64 v[14:15], v[26:27], v[14:15]
	s_waitcnt vmcnt(0)
	v_add_f64 v[28:29], v[28:29], v[12:13]
	s_clause 0x1
	buffer_load_dword v12, off, s[60:63], 0 offset:772
	buffer_load_dword v13, off, s[60:63], 0 offset:776
	s_waitcnt vmcnt(0)
	v_add_f64 v[50:51], v[50:51], v[12:13]
	s_clause 0x3
	buffer_load_dword v12, off, s[60:63], 0 offset:732
	buffer_load_dword v13, off, s[60:63], 0 offset:736
	;; [unrolled: 1-line block ×4, first 2 shown]
	v_add_f64 v[50:51], v[50:51], v[2:3]
	v_fma_f64 v[2:3], v[66:67], s[26:27], v[18:19]
	v_fma_f64 v[18:19], v[66:67], s[26:27], -v[18:19]
	s_waitcnt vmcnt(2)
	v_add_f64 v[32:33], v[12:13], -v[32:33]
	s_waitcnt vmcnt(0)
	v_add_f64 v[44:45], v[56:57], -v[44:45]
	s_clause 0x3
	buffer_load_dword v56, off, s[60:63], 0 offset:548
	buffer_load_dword v57, off, s[60:63], 0 offset:552
	;; [unrolled: 1-line block ×4, first 2 shown]
	v_add_f64 v[26:27], v[44:45], v[4:5]
	v_add_f64 v[4:5], v[100:101], v[54:55]
	s_waitcnt vmcnt(2)
	v_add_f64 v[64:65], v[69:70], v[56:57]
	s_waitcnt vmcnt(0)
	v_add_f64 v[28:29], v[28:29], v[8:9]
	s_clause 0x3
	buffer_load_dword v8, off, s[60:63], 0 offset:700
	buffer_load_dword v9, off, s[60:63], 0 offset:704
	;; [unrolled: 1-line block ×4, first 2 shown]
	v_fma_f64 v[69:70], v[136:137], s[24:25], v[74:75]
	v_fma_f64 v[74:75], v[132:133], s[40:41], v[76:77]
	v_fma_f64 v[76:77], v[132:133], s[12:13], -v[40:41]
	v_fma_f64 v[40:41], v[132:133], s[12:13], v[40:41]
	v_fma_f64 v[132:133], v[92:93], s[20:21], v[24:25]
	v_add_f64 v[69:70], v[69:70], v[20:21]
	v_add_f64 v[71:72], v[76:77], v[72:73]
	;; [unrolled: 1-line block ×4, first 2 shown]
	v_fma_f64 v[74:75], v[92:93], s[26:27], -v[22:23]
	v_add_f64 v[22:23], v[32:33], v[0:1]
	v_fma_f64 v[30:31], v[66:67], s[20:21], -v[88:89]
	v_fma_f64 v[76:77], v[92:93], s[12:13], v[96:97]
	v_fma_f64 v[66:67], v[66:67], s[20:21], v[88:89]
	v_fma_f64 v[88:89], v[92:93], s[12:13], -v[96:97]
	v_fma_f64 v[92:93], v[92:93], s[20:21], -v[24:25]
	v_add_f64 v[24:25], v[64:65], v[42:43]
	v_add_f64 v[42:43], v[86:87], v[52:53]
	;; [unrolled: 1-line block ×5, first 2 shown]
	s_waitcnt vmcnt(2)
	v_add_f64 v[84:85], v[84:85], v[8:9]
	s_waitcnt vmcnt(0)
	v_add_f64 v[2:3], v[2:3], v[6:7]
	s_clause 0x3
	buffer_load_dword v6, off, s[60:63], 0 offset:572
	buffer_load_dword v7, off, s[60:63], 0 offset:576
	;; [unrolled: 1-line block ×4, first 2 shown]
	v_add_f64 v[20:21], v[84:85], v[50:51]
	s_waitcnt vmcnt(2)
	v_add_f64 v[6:7], v[18:19], v[6:7]
	s_waitcnt vmcnt(0)
	v_add_f64 v[34:35], v[90:91], v[0:1]
	s_clause 0x3
	buffer_load_dword v0, off, s[60:63], 0 offset:692
	buffer_load_dword v1, off, s[60:63], 0 offset:696
	;; [unrolled: 1-line block ×4, first 2 shown]
	v_add_f64 v[18:19], v[98:99], v[16:17]
	v_add_f64 v[16:17], v[36:37], v[38:39]
	;; [unrolled: 1-line block ×5, first 2 shown]
	s_waitcnt vmcnt(2)
	v_add_f64 v[32:33], v[28:29], v[0:1]
	buffer_load_dword v0, off, s[60:63], 0  ; 4-byte Folded Reload
	v_add_f64 v[28:29], v[132:133], v[82:83]
	s_waitcnt vmcnt(0)
	v_lshrrev_b32_e32 v0, 1, v0
	v_mul_u32_u24_e32 v40, 34, v0
	v_add_f64 v[0:1], v[74:75], v[154:155]
	v_or_b32_e32 v8, v40, v8
	v_add_f64 v[40:41], v[94:95], v[71:72]
	v_lshl_add_u32 v8, v8, 4, v9
	ds_write_b128 v8, v[32:35]
	ds_write_b128 v8, v[28:31] offset:32
	ds_write_b128 v8, v[24:27] offset:64
	;; [unrolled: 1-line block ×6, first 2 shown]
	s_clause 0x3
	buffer_load_dword v4, off, s[60:63], 0 offset:868
	buffer_load_dword v5, off, s[60:63], 0 offset:872
	buffer_load_dword v6, off, s[60:63], 0 offset:876
	buffer_load_dword v7, off, s[60:63], 0 offset:880
	s_waitcnt vmcnt(0)
	ds_write_b128 v8, v[4:7] offset:224
	s_clause 0x3
	buffer_load_dword v4, off, s[60:63], 0 offset:812
	buffer_load_dword v5, off, s[60:63], 0 offset:816
	buffer_load_dword v6, off, s[60:63], 0 offset:820
	buffer_load_dword v7, off, s[60:63], 0 offset:824
	s_waitcnt vmcnt(0)
	ds_write_b128 v8, v[4:7] offset:256
	;; [unrolled: 7-line block ×4, first 2 shown]
	ds_write_b128 v8, v[0:3] offset:352
	ds_write_b128 v8, v[36:39] offset:384
	ds_write_b128 v8, v[40:43] offset:416
	ds_write_b128 v8, v[60:63] offset:448
	ds_write_b128 v8, v[250:253] offset:480
	ds_write_b128 v8, v[44:47] offset:512
.LBB0_25:
	s_or_b32 exec_lo, exec_lo, s33
	s_waitcnt lgkmcnt(0)
	s_waitcnt_vscnt null, 0x0
	s_barrier
	buffer_gl0_inv
	ds_read_b128 v[24:27], v68
	ds_read_b128 v[20:23], v68 offset:1088
	ds_read_b128 v[48:51], v68 offset:9248
	;; [unrolled: 1-line block ×13, first 2 shown]
	s_and_saveexec_b32 s0, vcc_lo
	s_cbranch_execz .LBB0_27
; %bb.26:
	ds_read_b128 v[60:63], v68 offset:7616
	ds_read_b128 v[250:253], v68 offset:15776
.LBB0_27:
	s_or_b32 exec_lo, exec_lo, s0
	s_waitcnt lgkmcnt(3)
	v_mul_f64 v[66:67], v[106:107], v[54:55]
	s_waitcnt lgkmcnt(0)
	s_barrier
	buffer_gl0_inv
	v_add_nc_u32_e32 v65, 0x440, v68
	v_add_nc_u32_e32 v64, 0x880, v68
	v_fma_f64 v[66:67], v[104:105], v[52:53], v[66:67]
	v_mul_f64 v[52:53], v[106:107], v[52:53]
	v_fma_f64 v[52:53], v[104:105], v[54:55], -v[52:53]
	v_mul_f64 v[54:55], v[110:111], v[50:51]
	v_fma_f64 v[54:55], v[108:109], v[48:49], v[54:55]
	v_mul_f64 v[48:49], v[110:111], v[48:49]
	v_fma_f64 v[48:49], v[108:109], v[50:51], -v[48:49]
	v_mul_f64 v[50:51], v[114:115], v[46:47]
	;; [unrolled: 4-line block ×4, first 2 shown]
	v_add_f64 v[42:43], v[14:15], -v[42:43]
	v_fma_f64 v[69:70], v[124:125], v[36:37], v[40:41]
	v_mul_f64 v[36:37], v[126:127], v[36:37]
	v_add_f64 v[40:41], v[12:13], -v[46:47]
	v_fma_f64 v[14:15], v[14:15], 2.0, -v[42:43]
	v_fma_f64 v[71:72], v[124:125], v[38:39], -v[36:37]
	v_mul_f64 v[36:37], v[122:123], v[34:35]
	v_add_f64 v[38:39], v[18:19], -v[44:45]
	v_fma_f64 v[12:13], v[12:13], 2.0, -v[40:41]
	v_add_f64 v[44:45], v[8:9], -v[69:70]
	v_add_f64 v[46:47], v[10:11], -v[71:72]
	v_fma_f64 v[73:74], v[120:121], v[32:33], v[36:37]
	v_mul_f64 v[32:33], v[122:123], v[32:33]
	v_add_f64 v[36:37], v[16:17], -v[50:51]
	v_fma_f64 v[18:19], v[18:19], 2.0, -v[38:39]
	v_fma_f64 v[8:9], v[8:9], 2.0, -v[44:45]
	;; [unrolled: 1-line block ×3, first 2 shown]
	v_fma_f64 v[75:76], v[120:121], v[34:35], -v[32:33]
	v_mul_f64 v[32:33], v[130:131], v[30:31]
	v_add_f64 v[34:35], v[22:23], -v[48:49]
	v_fma_f64 v[16:17], v[16:17], 2.0, -v[36:37]
	v_add_f64 v[48:49], v[4:5], -v[73:74]
	v_add_f64 v[50:51], v[6:7], -v[75:76]
	v_fma_f64 v[77:78], v[128:129], v[28:29], v[32:33]
	v_mul_f64 v[28:29], v[130:131], v[28:29]
	v_add_f64 v[32:33], v[20:21], -v[54:55]
	v_fma_f64 v[22:23], v[22:23], 2.0, -v[34:35]
	v_fma_f64 v[4:5], v[4:5], 2.0, -v[48:49]
	;; [unrolled: 1-line block ×3, first 2 shown]
	v_fma_f64 v[79:80], v[128:129], v[30:31], -v[28:29]
	v_add_f64 v[28:29], v[24:25], -v[66:67]
	buffer_load_dword v66, off, s[60:63], 0 offset:412 ; 4-byte Folded Reload
	v_add_f64 v[30:31], v[26:27], -v[52:53]
	v_fma_f64 v[20:21], v[20:21], 2.0, -v[32:33]
	v_add_f64 v[52:53], v[0:1], -v[77:78]
	v_add_f64 v[54:55], v[2:3], -v[79:80]
	v_fma_f64 v[24:25], v[24:25], 2.0, -v[28:29]
	v_fma_f64 v[26:27], v[26:27], 2.0, -v[30:31]
	s_waitcnt vmcnt(0)
	ds_write_b128 v66, v[24:27]
	ds_write_b128 v66, v[28:31] offset:544
	buffer_load_dword v24, off, s[60:63], 0 offset:428 ; 4-byte Folded Reload
	v_fma_f64 v[0:1], v[0:1], 2.0, -v[52:53]
	v_fma_f64 v[2:3], v[2:3], 2.0, -v[54:55]
	s_waitcnt vmcnt(0)
	ds_write_b128 v24, v[20:23]
	ds_write_b128 v24, v[32:35] offset:544
	buffer_load_dword v20, off, s[60:63], 0 offset:420 ; 4-byte Folded Reload
	s_waitcnt vmcnt(0)
	ds_write_b128 v20, v[16:19]
	ds_write_b128 v20, v[36:39] offset:544
	buffer_load_dword v16, off, s[60:63], 0 offset:460 ; 4-byte Folded Reload
	;; [unrolled: 4-line block ×5, first 2 shown]
	s_waitcnt vmcnt(0)
	ds_write_b128 v4, v[0:3]
	ds_write_b128 v4, v[52:55] offset:544
	s_mov_b32 s0, exec_lo
	s_clause 0x1
	buffer_load_dword v121, off, s[60:63], 0
	buffer_load_dword v8, off, s[60:63], 0 offset:12
	s_and_b32 s1, s0, vcc_lo
	s_mov_b32 exec_lo, s1
	s_cbranch_execz .LBB0_29
; %bb.28:
	s_clause 0x4
	buffer_load_dword v4, off, s[60:63], 0 offset:500
	buffer_load_dword v5, off, s[60:63], 0 offset:504
	;; [unrolled: 1-line block ×5, first 2 shown]
	s_waitcnt vmcnt(1)
	v_mul_f64 v[0:1], v[6:7], v[250:251]
	v_mul_f64 v[2:3], v[6:7], v[252:253]
	s_waitcnt vmcnt(0)
	v_lshl_add_u32 v8, v9, 4, v8
	v_fma_f64 v[0:1], v[4:5], v[252:253], -v[0:1]
	v_fma_f64 v[4:5], v[4:5], v[250:251], v[2:3]
	v_add_f64 v[2:3], v[62:63], -v[0:1]
	v_add_f64 v[0:1], v[60:61], -v[4:5]
	v_fma_f64 v[6:7], v[62:63], 2.0, -v[2:3]
	v_fma_f64 v[4:5], v[60:61], 2.0, -v[0:1]
	ds_write_b128 v8, v[4:7] offset:15232
	ds_write_b128 v8, v[0:3] offset:15776
.LBB0_29:
	s_or_b32 exec_lo, exec_lo, s0
	s_waitcnt vmcnt(0) lgkmcnt(0)
	s_barrier
	buffer_gl0_inv
	ds_read_b128 v[0:3], v68 offset:5440
	ds_read_b128 v[4:7], v68 offset:10880
	ds_read_b128 v[8:11], v68 offset:6528
	ds_read_b128 v[12:15], v68 offset:11968
	ds_read_b128 v[16:19], v68 offset:7616
	ds_read_b128 v[20:23], v68 offset:13056
	ds_read_b128 v[24:27], v68 offset:8704
	ds_read_b128 v[28:31], v68
	ds_read_b128 v[32:35], v68 offset:1088
	ds_read_b128 v[36:39], v68 offset:14144
	;; [unrolled: 1-line block ×7, first 2 shown]
	s_mov_b32 s0, 0xe8584caa
	s_mov_b32 s1, 0xbfebb67a
	;; [unrolled: 1-line block ×4, first 2 shown]
	s_waitcnt lgkmcnt(0)
	s_barrier
	v_mul_f64 v[60:61], v[150:151], v[2:3]
	v_mul_f64 v[62:63], v[142:143], v[6:7]
	;; [unrolled: 1-line block ×20, first 2 shown]
	buffer_gl0_inv
	s_mov_b32 s4, 0x134454ff
	v_fma_f64 v[0:1], v[148:149], v[0:1], v[60:61]
	v_fma_f64 v[4:5], v[140:141], v[4:5], v[62:63]
	v_fma_f64 v[2:3], v[148:149], v[2:3], -v[66:67]
	v_fma_f64 v[6:7], v[140:141], v[6:7], -v[69:70]
	v_fma_f64 v[8:9], v[148:149], v[8:9], v[71:72]
	v_fma_f64 v[12:13], v[140:141], v[12:13], v[73:74]
	v_fma_f64 v[10:11], v[148:149], v[10:11], -v[75:76]
	v_fma_f64 v[60:61], v[140:141], v[14:15], -v[77:78]
	;; [unrolled: 4-line block ×3, first 2 shown]
	v_fma_f64 v[18:19], v[172:173], v[24:25], v[87:88]
	v_fma_f64 v[20:21], v[172:173], v[26:27], -v[89:90]
	v_fma_f64 v[36:37], v[168:169], v[36:37], v[91:92]
	v_fma_f64 v[22:23], v[180:181], v[44:45], v[95:96]
	v_fma_f64 v[38:39], v[168:169], v[38:39], -v[93:94]
	v_fma_f64 v[24:25], v[180:181], v[46:47], -v[97:98]
	v_fma_f64 v[48:49], v[176:177], v[48:49], v[99:100]
	v_fma_f64 v[50:51], v[176:177], v[50:51], -v[101:102]
	s_mov_b32 s5, 0xbfee6f0e
	s_mov_b32 s15, 0x3fee6f0e
	v_add_f64 v[46:47], v[28:29], v[0:1]
	v_add_f64 v[26:27], v[0:1], v[4:5]
	v_add_f64 v[75:76], v[0:1], -v[4:5]
	v_add_f64 v[44:45], v[2:3], v[6:7]
	v_add_f64 v[71:72], v[2:3], -v[6:7]
	v_add_f64 v[69:70], v[8:9], v[12:13]
	v_add_f64 v[2:3], v[30:31], v[2:3]
	;; [unrolled: 1-line block ×5, first 2 shown]
	v_add_f64 v[79:80], v[10:11], -v[60:61]
	v_add_f64 v[81:82], v[34:35], v[10:11]
	v_add_f64 v[10:11], v[16:17], v[66:67]
	v_add_f64 v[83:84], v[8:9], -v[12:13]
	v_add_f64 v[85:86], v[52:53], v[14:15]
	v_add_f64 v[8:9], v[18:19], v[36:37]
	v_add_f64 v[95:96], v[14:15], -v[62:63]
	v_add_f64 v[87:88], v[16:17], -v[66:67]
	v_add_f64 v[89:90], v[54:55], v[16:17]
	v_add_f64 v[16:17], v[20:21], v[38:39]
	;; [unrolled: 1-line block ×5, first 2 shown]
	v_fma_f64 v[26:27], v[26:27], -0.5, v[28:29]
	v_add_f64 v[105:106], v[22:23], -v[48:49]
	v_fma_f64 v[14:15], v[44:45], -0.5, v[30:31]
	v_add_f64 v[44:45], v[56:57], v[18:19]
	v_fma_f64 v[28:29], v[69:70], -0.5, v[32:33]
	v_add_f64 v[2:3], v[2:3], v[6:7]
	v_fma_f64 v[30:31], v[73:74], -0.5, v[34:35]
	v_add_f64 v[73:74], v[18:19], -v[36:37]
	v_fma_f64 v[32:33], v[0:1], -0.5, v[52:53]
	v_add_f64 v[0:1], v[46:47], v[4:5]
	v_add_f64 v[4:5], v[77:78], v[12:13]
	v_fma_f64 v[34:35], v[10:11], -0.5, v[54:55]
	v_add_f64 v[6:7], v[81:82], v[60:61]
	v_add_f64 v[69:70], v[20:21], -v[38:39]
	v_fma_f64 v[46:47], v[8:9], -0.5, v[56:57]
	v_add_f64 v[93:94], v[24:25], v[50:51]
	v_add_f64 v[101:102], v[24:25], -v[50:51]
	v_add_f64 v[103:104], v[42:43], v[24:25]
	v_fma_f64 v[52:53], v[16:17], -0.5, v[58:59]
	v_add_f64 v[24:25], v[85:86], v[62:63]
	v_add_f64 v[38:39], v[97:98], v[38:39]
	v_fma_f64 v[54:55], v[91:92], -0.5, v[40:41]
	v_fma_f64 v[8:9], v[71:72], s[0:1], v[26:27]
	v_fma_f64 v[12:13], v[71:72], s[2:3], v[26:27]
	;; [unrolled: 1-line block ×8, first 2 shown]
	v_add_f64 v[26:27], v[89:90], v[66:67]
	v_fma_f64 v[28:29], v[87:88], s[0:1], v[32:33]
	v_fma_f64 v[32:33], v[87:88], s[2:3], v[32:33]
	;; [unrolled: 1-line block ×4, first 2 shown]
	v_add_f64 v[36:37], v[44:45], v[36:37]
	v_fma_f64 v[40:41], v[69:70], s[0:1], v[46:47]
	v_fma_f64 v[58:59], v[93:94], -0.5, v[42:43]
	v_fma_f64 v[44:45], v[69:70], s[2:3], v[46:47]
	v_add_f64 v[48:49], v[99:100], v[48:49]
	ds_write_b128 v68, v[0:3]
	ds_write_b128 v68, v[8:11] offset:1088
	ds_write_b128 v68, v[12:15] offset:2176
	;; [unrolled: 1-line block ×5, first 2 shown]
	buffer_load_dword v0, off, s[60:63], 0 offset:484 ; 4-byte Folded Reload
	v_fma_f64 v[42:43], v[73:74], s[2:3], v[52:53]
	v_fma_f64 v[46:47], v[73:74], s[0:1], v[52:53]
	v_add_f64 v[50:51], v[103:104], v[50:51]
	v_fma_f64 v[52:53], v[101:102], s[0:1], v[54:55]
	v_fma_f64 v[56:57], v[101:102], s[2:3], v[54:55]
	s_mov_b32 s14, s4
	s_mov_b32 s13, 0x3fe2cf23
	s_waitcnt vmcnt(0)
	ds_write_b128 v0, v[24:27] offset:6528
	ds_write_b128 v0, v[28:31] offset:7616
	;; [unrolled: 1-line block ×3, first 2 shown]
	buffer_load_dword v0, off, s[60:63], 0 offset:476 ; 4-byte Folded Reload
	v_fma_f64 v[54:55], v[105:106], s[2:3], v[58:59]
	v_fma_f64 v[58:59], v[105:106], s[0:1], v[58:59]
	s_mov_b32 s2, 0x4755a5e
	s_mov_b32 s3, 0xbfe2cf23
	;; [unrolled: 1-line block ×5, first 2 shown]
	s_waitcnt vmcnt(0)
	ds_write_b128 v0, v[36:39] offset:9792
	ds_write_b128 v0, v[40:43] offset:10880
	;; [unrolled: 1-line block ×3, first 2 shown]
	buffer_load_dword v0, off, s[60:63], 0 offset:468 ; 4-byte Folded Reload
	s_waitcnt vmcnt(0)
	ds_write_b128 v0, v[48:51] offset:13056
	ds_write_b128 v0, v[52:55] offset:14144
	;; [unrolled: 1-line block ×3, first 2 shown]
	s_waitcnt lgkmcnt(0)
	s_barrier
	buffer_gl0_inv
	ds_read_b128 v[0:3], v68 offset:6528
	ds_read_b128 v[4:7], v68 offset:9792
	;; [unrolled: 1-line block ×8, first 2 shown]
	s_waitcnt lgkmcnt(7)
	v_mul_f64 v[32:33], v[202:203], v[2:3]
	s_waitcnt lgkmcnt(6)
	v_mul_f64 v[34:35], v[198:199], v[6:7]
	;; [unrolled: 2-line block ×4, first 2 shown]
	v_mul_f64 v[40:41], v[202:203], v[0:1]
	v_mul_f64 v[42:43], v[198:199], v[4:5]
	;; [unrolled: 1-line block ×4, first 2 shown]
	s_waitcnt lgkmcnt(3)
	v_mul_f64 v[66:67], v[218:219], v[18:19]
	v_mul_f64 v[75:76], v[218:219], v[16:17]
	s_waitcnt lgkmcnt(2)
	v_mul_f64 v[81:82], v[206:207], v[22:23]
	v_mul_f64 v[83:84], v[206:207], v[20:21]
	;; [unrolled: 3-line block ×3, first 2 shown]
	v_fma_f64 v[48:49], v[200:201], v[0:1], v[32:33]
	v_fma_f64 v[50:51], v[196:197], v[4:5], v[34:35]
	;; [unrolled: 1-line block ×4, first 2 shown]
	v_fma_f64 v[56:57], v[200:201], v[2:3], -v[40:41]
	v_fma_f64 v[58:59], v[196:197], v[6:7], -v[42:43]
	ds_read_b128 v[32:35], v68 offset:10880
	ds_read_b128 v[36:39], v68 offset:11968
	;; [unrolled: 1-line block ×4, first 2 shown]
	v_fma_f64 v[44:45], v[188:189], v[10:11], -v[44:45]
	ds_read_b128 v[8:11], v68
	v_fma_f64 v[46:47], v[192:193], v[14:15], -v[46:47]
	v_fma_f64 v[20:21], v[204:205], v[20:21], v[81:82]
	v_fma_f64 v[18:19], v[216:217], v[18:19], -v[75:76]
	v_fma_f64 v[22:23], v[204:205], v[22:23], -v[83:84]
	ds_read_b128 v[12:15], v68 offset:1088
	ds_read_b128 v[40:43], v68 offset:15232
	v_fma_f64 v[24:25], v[228:229], v[24:25], v[89:90]
	v_fma_f64 v[26:27], v[228:229], v[26:27], -v[91:92]
	v_add_f64 v[60:61], v[48:49], v[50:51]
	v_add_f64 v[62:63], v[52:53], v[54:55]
	s_waitcnt lgkmcnt(6)
	v_mul_f64 v[69:70], v[210:211], v[34:35]
	v_add_f64 v[77:78], v[56:57], v[58:59]
	s_waitcnt lgkmcnt(4)
	v_mul_f64 v[71:72], v[214:215], v[2:3]
	v_mul_f64 v[73:74], v[214:215], v[0:1]
	v_add_f64 v[101:102], v[56:57], -v[58:59]
	s_waitcnt lgkmcnt(2)
	v_add_f64 v[97:98], v[8:9], v[52:53]
	v_mul_f64 v[79:80], v[210:211], v[32:33]
	v_mul_f64 v[85:86], v[234:235], v[6:7]
	v_mul_f64 v[87:88], v[234:235], v[4:5]
	v_add_f64 v[99:100], v[44:45], -v[46:47]
	v_add_f64 v[75:76], v[44:45], v[46:47]
	v_add_f64 v[81:82], v[50:51], -v[54:55]
	v_mul_f64 v[93:94], v[226:227], v[38:39]
	v_mul_f64 v[95:96], v[226:227], v[36:37]
	v_add_f64 v[107:108], v[46:47], -v[58:59]
	v_fma_f64 v[60:61], v[60:61], -0.5, v[8:9]
	v_fma_f64 v[8:9], v[62:63], -0.5, v[8:9]
	v_fma_f64 v[62:63], v[216:217], v[16:17], v[66:67]
	v_fma_f64 v[32:33], v[208:209], v[32:33], v[69:70]
	;; [unrolled: 1-line block ×3, first 2 shown]
	v_add_f64 v[0:1], v[10:11], v[44:45]
	v_add_f64 v[71:72], v[52:53], -v[54:55]
	v_fma_f64 v[77:78], v[77:78], -0.5, v[10:11]
	v_fma_f64 v[73:74], v[212:213], v[2:3], -v[73:74]
	v_add_f64 v[2:3], v[52:53], -v[48:49]
	v_add_f64 v[52:53], v[48:49], -v[52:53]
	v_add_f64 v[83:84], v[97:98], v[48:49]
	s_waitcnt lgkmcnt(0)
	v_mul_f64 v[16:17], v[222:223], v[42:43]
	v_mul_f64 v[66:67], v[222:223], v[40:41]
	v_fma_f64 v[34:35], v[208:209], v[34:35], -v[79:80]
	v_add_f64 v[79:80], v[54:55], -v[50:51]
	v_fma_f64 v[85:86], v[232:233], v[4:5], v[85:86]
	v_add_f64 v[4:5], v[48:49], -v[50:51]
	v_add_f64 v[48:49], v[44:45], -v[56:57]
	v_fma_f64 v[87:88], v[232:233], v[6:7], -v[87:88]
	v_fma_f64 v[10:11], v[75:76], -0.5, v[10:11]
	v_fma_f64 v[97:98], v[99:100], s[4:5], v[60:61]
	v_fma_f64 v[60:61], v[99:100], s[14:15], v[60:61]
	;; [unrolled: 1-line block ×4, first 2 shown]
	v_add_f64 v[105:106], v[62:63], v[32:33]
	v_add_f64 v[6:7], v[69:70], v[20:21]
	;; [unrolled: 1-line block ×4, first 2 shown]
	v_fma_f64 v[109:110], v[71:72], s[14:15], v[77:78]
	v_fma_f64 v[77:78], v[71:72], s[4:5], v[77:78]
	v_add_f64 v[75:76], v[73:74], -v[22:23]
	v_add_f64 v[52:53], v[52:53], v[81:82]
	v_add_f64 v[50:51], v[83:84], v[50:51]
	v_fma_f64 v[36:37], v[224:225], v[36:37], v[93:94]
	v_fma_f64 v[38:39], v[224:225], v[38:39], -v[95:96]
	v_fma_f64 v[40:41], v[220:221], v[40:41], v[16:17]
	v_add_f64 v[2:3], v[2:3], v[79:80]
	v_fma_f64 v[42:43], v[220:221], v[42:43], -v[66:67]
	v_add_f64 v[44:45], v[56:57], -v[44:45]
	v_add_f64 v[48:49], v[48:49], v[107:108]
	v_add_f64 v[56:57], v[58:59], -v[46:47]
	v_fma_f64 v[66:67], v[4:5], s[4:5], v[10:11]
	v_fma_f64 v[79:80], v[101:102], s[2:3], v[97:98]
	;; [unrolled: 1-line block ×5, first 2 shown]
	v_fma_f64 v[91:92], v[105:106], -0.5, v[12:13]
	v_fma_f64 v[99:100], v[6:7], -0.5, v[12:13]
	v_add_f64 v[93:94], v[0:1], v[58:59]
	v_add_f64 v[89:90], v[89:90], v[62:63]
	v_fma_f64 v[95:96], v[4:5], s[12:13], v[109:110]
	v_fma_f64 v[58:59], v[4:5], s[2:3], v[77:78]
	v_add_f64 v[77:78], v[18:19], v[34:35]
	v_add_f64 v[97:98], v[18:19], -v[34:35]
	v_fma_f64 v[101:102], v[4:5], s[14:15], v[10:11]
	v_add_f64 v[0:1], v[50:51], v[54:55]
	v_add_f64 v[54:55], v[69:70], -v[62:63]
	v_add_f64 v[107:108], v[85:86], -v[24:25]
	;; [unrolled: 1-line block ×5, first 2 shown]
	v_add_f64 v[44:45], v[44:45], v[56:57]
	v_add_f64 v[56:57], v[14:15], v[73:74]
	v_fma_f64 v[4:5], v[2:3], s[0:1], v[79:80]
	v_fma_f64 v[8:9], v[2:3], s[0:1], v[60:61]
	;; [unrolled: 1-line block ×4, first 2 shown]
	v_add_f64 v[52:53], v[73:74], v[22:23]
	v_fma_f64 v[50:51], v[75:76], s[4:5], v[91:92]
	v_add_f64 v[60:61], v[20:21], -v[32:33]
	v_add_f64 v[2:3], v[93:94], v[46:47]
	v_add_f64 v[46:47], v[24:25], v[36:37]
	v_fma_f64 v[6:7], v[48:49], s[0:1], v[95:96]
	v_fma_f64 v[79:80], v[75:76], s[14:15], v[91:92]
	v_add_f64 v[91:92], v[85:86], v[40:41]
	v_add_f64 v[93:94], v[32:33], -v[20:21]
	v_fma_f64 v[10:11], v[48:49], s[0:1], v[58:59]
	v_fma_f64 v[48:49], v[71:72], s[12:13], v[66:67]
	v_fma_f64 v[66:67], v[77:78], -0.5, v[14:15]
	v_add_f64 v[89:90], v[89:90], v[32:33]
	v_add_f64 v[32:33], v[62:63], -v[32:33]
	v_fma_f64 v[81:82], v[97:98], s[14:15], v[99:100]
	v_add_f64 v[83:84], v[62:63], -v[69:70]
	v_add_f64 v[58:59], v[26:27], v[38:39]
	v_add_f64 v[77:78], v[87:88], v[42:43]
	v_add_f64 v[69:70], v[69:70], -v[20:21]
	v_add_f64 v[95:96], v[85:86], -v[40:41]
	v_add_f64 v[56:57], v[56:57], v[18:19]
	v_fma_f64 v[71:72], v[71:72], s[2:3], v[101:102]
	v_fma_f64 v[14:15], v[52:53], -0.5, v[14:15]
	v_fma_f64 v[50:51], v[97:98], s[2:3], v[50:51]
	v_add_f64 v[52:53], v[54:55], v[60:61]
	v_add_f64 v[54:55], v[28:29], v[85:86]
	v_fma_f64 v[46:47], v[46:47], -0.5, v[28:29]
	v_add_f64 v[60:61], v[87:88], -v[42:43]
	v_fma_f64 v[62:63], v[97:98], s[12:13], v[79:80]
	v_fma_f64 v[28:29], v[91:92], -0.5, v[28:29]
	v_fma_f64 v[91:92], v[97:98], s[4:5], v[99:100]
	v_add_f64 v[97:98], v[24:25], -v[36:37]
	v_add_f64 v[99:100], v[73:74], -v[18:19]
	;; [unrolled: 1-line block ×5, first 2 shown]
	v_fma_f64 v[79:80], v[75:76], s[2:3], v[81:82]
	v_add_f64 v[83:84], v[83:84], v[93:94]
	v_add_f64 v[93:94], v[30:31], v[87:88]
	v_fma_f64 v[58:59], v[58:59], -0.5, v[30:31]
	v_fma_f64 v[30:31], v[77:78], -0.5, v[30:31]
	v_fma_f64 v[77:78], v[69:70], s[14:15], v[66:67]
	v_fma_f64 v[66:67], v[69:70], s[4:5], v[66:67]
	v_add_f64 v[81:82], v[26:27], -v[38:39]
	v_fma_f64 v[103:104], v[32:33], s[4:5], v[14:15]
	v_fma_f64 v[14:15], v[32:33], s[14:15], v[14:15]
	v_add_f64 v[34:35], v[56:57], v[34:35]
	v_add_f64 v[54:55], v[54:55], v[24:25]
	v_add_f64 v[24:25], v[24:25], -v[85:86]
	v_fma_f64 v[105:106], v[60:61], s[4:5], v[46:47]
	v_fma_f64 v[46:47], v[60:61], s[14:15], v[46:47]
	v_add_f64 v[85:86], v[36:37], -v[40:41]
	v_fma_f64 v[75:76], v[75:76], s[12:13], v[91:92]
	v_add_f64 v[20:21], v[89:90], v[20:21]
	v_add_f64 v[73:74], v[18:19], v[73:74]
	v_fma_f64 v[18:19], v[44:45], s[0:1], v[71:72]
	v_add_f64 v[93:94], v[93:94], v[26:27]
	v_fma_f64 v[113:114], v[95:96], s[14:15], v[58:59]
	v_fma_f64 v[119:120], v[97:98], s[4:5], v[30:31]
	v_add_f64 v[26:27], v[26:27], -v[87:88]
	v_add_f64 v[87:88], v[38:39], -v[42:43]
	v_fma_f64 v[111:112], v[81:82], s[14:15], v[28:29]
	v_fma_f64 v[91:92], v[69:70], s[12:13], v[103:104]
	;; [unrolled: 1-line block ×8, first 2 shown]
	v_add_f64 v[77:78], v[99:100], v[101:102]
	ds_write_b128 v68, v[0:3]
	ds_write_b128 v68, v[4:7] offset:3264
	ds_write_b128 v68, v[12:15] offset:6528
	buffer_load_dword v0, off, s[60:63], 0 offset:16 ; 4-byte Folded Reload
	v_fma_f64 v[66:67], v[32:33], s[2:3], v[66:67]
	v_add_f64 v[54:55], v[54:55], v[36:37]
	v_add_f64 v[93:94], v[93:94], v[38:39]
	v_fma_f64 v[99:100], v[81:82], s[2:3], v[105:106]
	v_add_f64 v[101:102], v[107:108], v[109:110]
	v_fma_f64 v[46:47], v[81:82], s[12:13], v[46:47]
	v_fma_f64 v[103:104], v[97:98], s[12:13], v[113:114]
	v_add_f64 v[105:106], v[115:116], v[117:118]
	v_fma_f64 v[81:82], v[60:61], s[2:3], v[111:112]
	v_add_f64 v[85:86], v[24:25], v[85:86]
	;; [unrolled: 2-line block ×3, first 2 shown]
	v_fma_f64 v[60:61], v[60:61], s[12:13], v[28:29]
	v_fma_f64 v[95:96], v[95:96], s[2:3], v[30:31]
	;; [unrolled: 1-line block ×3, first 2 shown]
	v_add_f64 v[22:23], v[34:35], v[22:23]
	v_fma_f64 v[24:25], v[52:53], s[0:1], v[50:51]
	v_fma_f64 v[26:27], v[77:78], s[0:1], v[56:57]
	;; [unrolled: 1-line block ×8, first 2 shown]
	v_add_f64 v[40:41], v[54:55], v[40:41]
	v_add_f64 v[42:43], v[93:94], v[42:43]
	v_fma_f64 v[44:45], v[101:102], s[0:1], v[99:100]
	v_fma_f64 v[48:49], v[101:102], s[0:1], v[46:47]
	s_mov_b32 s2, 0x10101010
	v_fma_f64 v[46:47], v[105:106], s[0:1], v[103:104]
	s_mov_b32 s3, 0x3f501010
	v_fma_f64 v[52:53], v[85:86], s[0:1], v[81:82]
	v_fma_f64 v[54:55], v[87:88], s[0:1], v[107:108]
	;; [unrolled: 1-line block ×5, first 2 shown]
	s_mul_hi_u32 s1, s8, 0x1fe
	s_waitcnt vmcnt(0)
	ds_write_b128 v0, v[16:19] offset:9792
	ds_write_b128 v0, v[8:11] offset:13056
	;; [unrolled: 1-line block ×12, first 2 shown]
	s_waitcnt lgkmcnt(0)
	s_barrier
	buffer_gl0_inv
	ds_read_b128 v[0:3], v68
	ds_read_b128 v[4:7], v68 offset:1088
	s_clause 0x3
	buffer_load_dword v34, off, s[60:63], 0 offset:40
	buffer_load_dword v35, off, s[60:63], 0 offset:44
	;; [unrolled: 1-line block ×4, first 2 shown]
	ds_read_b128 v[8:11], v68 offset:8160
	s_clause 0x1
	buffer_load_dword v12, off, s[60:63], 0 offset:32
	buffer_load_dword v13, off, s[60:63], 0 offset:36
	v_mad_u64_u32 v[32:33], null, s8, v121, 0
	ds_read_b128 v[16:19], v68 offset:6528
	s_waitcnt vmcnt(2) lgkmcnt(3)
	v_mul_f64 v[20:21], v[36:37], v[2:3]
	v_mul_f64 v[22:23], v[36:37], v[0:1]
	s_waitcnt vmcnt(1)
	v_mov_b32_e32 v25, v12
	s_waitcnt vmcnt(0)
	ds_read_b128 v[12:15], v68 offset:9248
	s_clause 0x7
	buffer_load_dword v54, off, s[60:63], 0 offset:200
	buffer_load_dword v55, off, s[60:63], 0 offset:204
	;; [unrolled: 1-line block ×8, first 2 shown]
	v_mad_u64_u32 v[26:27], null, s10, v25, 0
	v_mov_b32_e32 v24, v27
	v_fma_f64 v[30:31], v[34:35], v[0:1], v[20:21]
	v_fma_f64 v[34:35], v[34:35], v[2:3], -v[22:23]
	ds_read_b128 v[0:3], v68 offset:10336
	v_mad_u64_u32 v[20:21], null, s11, v25, v[24:25]
	v_mov_b32_e32 v21, v33
	v_mad_u64_u32 v[46:47], null, s9, v121, v[21:22]
	v_mov_b32_e32 v27, v20
	v_mov_b32_e32 v33, v46
	v_mul_f64 v[24:25], v[30:31], s[2:3]
	s_waitcnt vmcnt(4) lgkmcnt(3)
	v_mul_f64 v[28:29], v[56:57], v[10:11]
	s_waitcnt vmcnt(0)
	v_mul_f64 v[38:39], v[50:51], v[6:7]
	v_mul_f64 v[40:41], v[50:51], v[4:5]
	s_clause 0x3
	buffer_load_dword v50, off, s[60:63], 0 offset:184
	buffer_load_dword v51, off, s[60:63], 0 offset:188
	buffer_load_dword v52, off, s[60:63], 0 offset:192
	buffer_load_dword v53, off, s[60:63], 0 offset:196
	v_mul_f64 v[36:37], v[56:57], v[8:9]
	ds_read_b128 v[20:23], v68 offset:2176
	v_fma_f64 v[8:9], v[54:55], v[8:9], v[28:29]
	v_lshlrev_b64 v[28:29], 4, v[26:27]
	v_fma_f64 v[30:31], v[48:49], v[4:5], v[38:39]
	v_mul_f64 v[26:27], v[34:35], s[2:3]
	v_fma_f64 v[10:11], v[54:55], v[10:11], -v[36:37]
	v_add_co_u32 v46, s0, s6, v28
	v_add_co_ci_u32_e64 v47, s0, s7, v29, s0
	v_lshlrev_b64 v[28:29], 4, v[32:33]
	v_fma_f64 v[32:33], v[48:49], v[6:7], -v[40:41]
	ds_read_b128 v[4:7], v68 offset:3264
	s_mul_i32 s6, s8, 0xfffffe46
	v_add_co_u32 v40, s0, v46, v28
	v_add_co_ci_u32_e64 v41, s0, v47, v29, s0
	s_mul_i32 s0, s9, 0x1fe
	v_mul_f64 v[8:9], v[8:9], s[2:3]
	s_add_i32 s1, s1, s0
	s_mul_i32 s0, s8, 0x1fe
	v_mul_f64 v[10:11], v[10:11], s[2:3]
	s_lshl_b64 s[4:5], s[0:1], 4
	s_mul_hi_u32 s0, s8, 0xfffffe46
	s_mul_i32 s1, s9, 0xfffffe46
	s_sub_i32 s0, s0, s8
	s_add_i32 s7, s0, s1
	s_lshl_b64 s[6:7], s[6:7], 4
	s_waitcnt vmcnt(0) lgkmcnt(3)
	v_mul_f64 v[42:43], v[52:53], v[14:15]
	v_mul_f64 v[44:45], v[52:53], v[12:13]
	s_clause 0x3
	buffer_load_dword v52, off, s[60:63], 0 offset:168
	buffer_load_dword v53, off, s[60:63], 0 offset:172
	;; [unrolled: 1-line block ×4, first 2 shown]
	v_fma_f64 v[34:35], v[50:51], v[12:13], v[42:43]
	v_fma_f64 v[36:37], v[50:51], v[14:15], -v[44:45]
	s_clause 0x3
	buffer_load_dword v48, off, s[60:63], 0 offset:152
	buffer_load_dword v49, off, s[60:63], 0 offset:156
	;; [unrolled: 1-line block ×4, first 2 shown]
	v_mul_f64 v[12:13], v[30:31], s[2:3]
	v_mul_f64 v[14:15], v[32:33], s[2:3]
	v_mul_f64 v[28:29], v[34:35], s[2:3]
	v_mul_f64 v[30:31], v[36:37], s[2:3]
	v_add_co_u32 v34, s0, v40, s4
	v_add_co_ci_u32_e64 v35, s0, s5, v41, s0
	s_waitcnt vmcnt(4) lgkmcnt(1)
	v_mul_f64 v[38:39], v[54:55], v[22:23]
	v_mul_f64 v[42:43], v[54:55], v[20:21]
	v_fma_f64 v[32:33], v[52:53], v[20:21], v[38:39]
	v_fma_f64 v[36:37], v[52:53], v[22:23], -v[42:43]
	ds_read_b128 v[20:23], v68 offset:11424
	s_clause 0x3
	buffer_load_dword v54, off, s[60:63], 0 offset:136
	buffer_load_dword v55, off, s[60:63], 0 offset:140
	;; [unrolled: 1-line block ×4, first 2 shown]
	s_waitcnt vmcnt(4)
	v_mul_f64 v[44:45], v[50:51], v[2:3]
	v_mul_f64 v[46:47], v[50:51], v[0:1]
	v_add_co_u32 v38, s0, v34, s6
	v_add_co_ci_u32_e64 v39, s0, s7, v35, s0
	global_store_dwordx4 v[40:41], v[24:27], off
	v_add_co_u32 v50, s0, v38, s4
	v_add_co_ci_u32_e64 v51, s0, s5, v39, s0
	v_fma_f64 v[42:43], v[48:49], v[0:1], v[44:45]
	v_fma_f64 v[44:45], v[48:49], v[2:3], -v[46:47]
	ds_read_b128 v[0:3], v68 offset:4352
	global_store_dwordx4 v[34:35], v[8:11], off
	global_store_dwordx4 v[38:39], v[12:15], off
	;; [unrolled: 1-line block ×3, first 2 shown]
	ds_read_b128 v[12:15], v68 offset:12512
	v_mul_f64 v[10:11], v[36:37], s[2:3]
	v_mul_f64 v[8:9], v[32:33], s[2:3]
	v_add_co_u32 v50, s0, v50, s6
	v_add_co_ci_u32_e64 v51, s0, s7, v51, s0
	v_mul_f64 v[32:33], v[42:43], s[2:3]
	v_mul_f64 v[34:35], v[44:45], s[2:3]
	s_waitcnt vmcnt(0) lgkmcnt(3)
	v_mul_f64 v[46:47], v[56:57], v[6:7]
	v_mul_f64 v[48:49], v[56:57], v[4:5]
	s_clause 0x3
	buffer_load_dword v56, off, s[60:63], 0 offset:104
	buffer_load_dword v57, off, s[60:63], 0 offset:108
	buffer_load_dword v58, off, s[60:63], 0 offset:112
	buffer_load_dword v59, off, s[60:63], 0 offset:116
	ds_read_b128 v[24:27], v68 offset:5440
	ds_read_b128 v[28:31], v68 offset:13600
	ds_read_b128 v[36:39], v68 offset:14688
	s_clause 0x7
	buffer_load_dword v73, off, s[60:63], 0 offset:88
	buffer_load_dword v74, off, s[60:63], 0 offset:92
	;; [unrolled: 1-line block ×8, first 2 shown]
	v_fma_f64 v[4:5], v[54:55], v[4:5], v[46:47]
	v_fma_f64 v[6:7], v[54:55], v[6:7], -v[48:49]
	v_add_co_u32 v46, s0, v50, s4
	v_add_co_ci_u32_e64 v47, s0, s5, v51, s0
	v_mul_f64 v[4:5], v[4:5], s[2:3]
	v_mul_f64 v[6:7], v[6:7], s[2:3]
	s_waitcnt vmcnt(8) lgkmcnt(5)
	v_mul_f64 v[40:41], v[58:59], v[22:23]
	v_mul_f64 v[52:53], v[58:59], v[20:21]
	s_waitcnt vmcnt(4) lgkmcnt(4)
	v_mul_f64 v[42:43], v[75:76], v[2:3]
	v_mul_f64 v[44:45], v[75:76], v[0:1]
	s_clause 0x3
	buffer_load_dword v75, off, s[60:63], 0 offset:120
	buffer_load_dword v76, off, s[60:63], 0 offset:124
	;; [unrolled: 1-line block ×4, first 2 shown]
	s_waitcnt vmcnt(4) lgkmcnt(3)
	v_mul_f64 v[48:49], v[71:72], v[14:15]
	v_mul_f64 v[54:55], v[71:72], v[12:13]
	v_fma_f64 v[20:21], v[56:57], v[20:21], v[40:41]
	v_fma_f64 v[22:23], v[56:57], v[22:23], -v[52:53]
	v_fma_f64 v[12:13], v[69:70], v[12:13], v[48:49]
	v_fma_f64 v[14:15], v[69:70], v[14:15], -v[54:55]
	v_mul_f64 v[12:13], v[12:13], s[2:3]
	v_mul_f64 v[14:15], v[14:15], s[2:3]
	s_waitcnt vmcnt(0) lgkmcnt(2)
	v_mul_f64 v[40:41], v[77:78], v[26:27]
	v_mul_f64 v[52:53], v[77:78], v[24:25]
	s_clause 0x3
	buffer_load_dword v77, off, s[60:63], 0 offset:216
	buffer_load_dword v78, off, s[60:63], 0 offset:220
	;; [unrolled: 1-line block ×4, first 2 shown]
	s_waitcnt vmcnt(0) lgkmcnt(1)
	v_mul_f64 v[56:57], v[79:80], v[30:31]
	v_mul_f64 v[58:59], v[79:80], v[28:29]
	s_clause 0x3
	buffer_load_dword v79, off, s[60:63], 0 offset:232
	buffer_load_dword v80, off, s[60:63], 0 offset:236
	;; [unrolled: 1-line block ×4, first 2 shown]
	s_waitcnt vmcnt(0)
	v_mul_f64 v[60:61], v[81:82], v[18:19]
	v_mul_f64 v[62:63], v[81:82], v[16:17]
	s_clause 0x3
	buffer_load_dword v81, off, s[60:63], 0 offset:248
	buffer_load_dword v82, off, s[60:63], 0 offset:252
	;; [unrolled: 1-line block ×4, first 2 shown]
	global_store_dwordx4 v[50:51], v[8:11], off
	global_store_dwordx4 v[46:47], v[32:35], off
	v_fma_f64 v[8:9], v[73:74], v[0:1], v[42:43]
	v_fma_f64 v[10:11], v[73:74], v[2:3], -v[44:45]
	v_mul_f64 v[0:1], v[20:21], s[2:3]
	v_fma_f64 v[20:21], v[75:76], v[24:25], v[40:41]
	v_fma_f64 v[24:25], v[77:78], v[28:29], v[56:57]
	v_mul_f64 v[2:3], v[22:23], s[2:3]
	v_fma_f64 v[22:23], v[75:76], v[26:27], -v[52:53]
	v_add_co_u32 v32, s0, v46, s6
	v_fma_f64 v[26:27], v[77:78], v[30:31], -v[58:59]
	v_add_co_ci_u32_e64 v33, s0, s7, v47, s0
	global_store_dwordx4 v[32:33], v[4:7], off
	v_fma_f64 v[28:29], v[79:80], v[16:17], v[60:61]
	v_fma_f64 v[30:31], v[79:80], v[18:19], -v[62:63]
	v_mul_f64 v[8:9], v[8:9], s[2:3]
	v_mul_f64 v[10:11], v[10:11], s[2:3]
	;; [unrolled: 1-line block ×8, first 2 shown]
	s_waitcnt vmcnt(0) lgkmcnt(0)
	v_mul_f64 v[64:65], v[83:84], v[38:39]
	v_mul_f64 v[66:67], v[83:84], v[36:37]
	v_fma_f64 v[34:35], v[81:82], v[36:37], v[64:65]
	v_fma_f64 v[36:37], v[81:82], v[38:39], -v[66:67]
	v_add_co_u32 v38, s0, v32, s4
	v_add_co_ci_u32_e64 v39, s0, s5, v33, s0
	v_add_co_u32 v40, s0, v38, s6
	v_add_co_ci_u32_e64 v41, s0, s7, v39, s0
	global_store_dwordx4 v[38:39], v[0:3], off
	v_add_co_u32 v42, s0, v40, s4
	v_add_co_ci_u32_e64 v43, s0, s5, v41, s0
	global_store_dwordx4 v[40:41], v[8:11], off
	v_mul_f64 v[28:29], v[34:35], s[2:3]
	v_add_co_u32 v34, s0, v42, s6
	v_add_co_ci_u32_e64 v35, s0, s7, v43, s0
	v_mul_f64 v[30:31], v[36:37], s[2:3]
	v_add_co_u32 v4, s0, v34, s4
	v_add_co_ci_u32_e64 v5, s0, s5, v35, s0
	v_add_co_u32 v2, s0, v4, s6
	v_add_co_ci_u32_e64 v3, s0, s7, v5, s0
	;; [unrolled: 2-line block ×3, first 2 shown]
	global_store_dwordx4 v[42:43], v[12:15], off
	global_store_dwordx4 v[34:35], v[16:19], off
	;; [unrolled: 1-line block ×5, first 2 shown]
	s_and_b32 exec_lo, exec_lo, vcc_lo
	s_cbranch_execz .LBB0_31
; %bb.30:
	s_clause 0x1
	buffer_load_dword v2, off, s[60:63], 0 offset:24
	buffer_load_dword v3, off, s[60:63], 0 offset:28
	s_waitcnt vmcnt(0)
	global_load_dwordx4 v[2:5], v[2:3], off offset:1472
	ds_read_b128 v[6:9], v68 offset:7616
	ds_read_b128 v[10:13], v68 offset:15776
	s_waitcnt vmcnt(0) lgkmcnt(1)
	v_mul_f64 v[14:15], v[8:9], v[4:5]
	v_mul_f64 v[4:5], v[6:7], v[4:5]
	v_fma_f64 v[6:7], v[6:7], v[2:3], v[14:15]
	v_fma_f64 v[4:5], v[2:3], v[8:9], -v[4:5]
	v_mul_f64 v[2:3], v[6:7], s[2:3]
	v_mul_f64 v[4:5], v[4:5], s[2:3]
	v_add_co_u32 v6, vcc_lo, v0, s6
	v_add_co_ci_u32_e32 v7, vcc_lo, s7, v1, vcc_lo
	global_store_dwordx4 v[6:7], v[2:5], off
	s_clause 0x1
	buffer_load_dword v0, off, s[60:63], 0 offset:4
	buffer_load_dword v1, off, s[60:63], 0 offset:8
	s_waitcnt vmcnt(0)
	global_load_dwordx4 v[0:3], v[0:1], off offset:1440
	s_waitcnt vmcnt(0) lgkmcnt(0)
	v_mul_f64 v[4:5], v[12:13], v[2:3]
	v_mul_f64 v[2:3], v[10:11], v[2:3]
	v_fma_f64 v[4:5], v[10:11], v[0:1], v[4:5]
	v_fma_f64 v[2:3], v[0:1], v[12:13], -v[2:3]
	v_mul_f64 v[0:1], v[4:5], s[2:3]
	v_mul_f64 v[2:3], v[2:3], s[2:3]
	v_add_co_u32 v4, vcc_lo, v6, s4
	v_add_co_ci_u32_e32 v5, vcc_lo, s5, v7, vcc_lo
	global_store_dwordx4 v[4:5], v[0:3], off
.LBB0_31:
	s_endpgm
	.section	.rodata,"a",@progbits
	.p2align	6, 0x0
	.amdhsa_kernel bluestein_single_fwd_len1020_dim1_dp_op_CI_CI
		.amdhsa_group_segment_fixed_size 48960
		.amdhsa_private_segment_fixed_size 936
		.amdhsa_kernarg_size 104
		.amdhsa_user_sgpr_count 6
		.amdhsa_user_sgpr_private_segment_buffer 1
		.amdhsa_user_sgpr_dispatch_ptr 0
		.amdhsa_user_sgpr_queue_ptr 0
		.amdhsa_user_sgpr_kernarg_segment_ptr 1
		.amdhsa_user_sgpr_dispatch_id 0
		.amdhsa_user_sgpr_flat_scratch_init 0
		.amdhsa_user_sgpr_private_segment_size 0
		.amdhsa_wavefront_size32 1
		.amdhsa_uses_dynamic_stack 0
		.amdhsa_system_sgpr_private_segment_wavefront_offset 1
		.amdhsa_system_sgpr_workgroup_id_x 1
		.amdhsa_system_sgpr_workgroup_id_y 0
		.amdhsa_system_sgpr_workgroup_id_z 0
		.amdhsa_system_sgpr_workgroup_info 0
		.amdhsa_system_vgpr_workitem_id 0
		.amdhsa_next_free_vgpr 256
		.amdhsa_next_free_sgpr 64
		.amdhsa_reserve_vcc 1
		.amdhsa_reserve_flat_scratch 0
		.amdhsa_float_round_mode_32 0
		.amdhsa_float_round_mode_16_64 0
		.amdhsa_float_denorm_mode_32 3
		.amdhsa_float_denorm_mode_16_64 3
		.amdhsa_dx10_clamp 1
		.amdhsa_ieee_mode 1
		.amdhsa_fp16_overflow 0
		.amdhsa_workgroup_processor_mode 1
		.amdhsa_memory_ordered 1
		.amdhsa_forward_progress 0
		.amdhsa_shared_vgpr_count 0
		.amdhsa_exception_fp_ieee_invalid_op 0
		.amdhsa_exception_fp_denorm_src 0
		.amdhsa_exception_fp_ieee_div_zero 0
		.amdhsa_exception_fp_ieee_overflow 0
		.amdhsa_exception_fp_ieee_underflow 0
		.amdhsa_exception_fp_ieee_inexact 0
		.amdhsa_exception_int_div_zero 0
	.end_amdhsa_kernel
	.text
.Lfunc_end0:
	.size	bluestein_single_fwd_len1020_dim1_dp_op_CI_CI, .Lfunc_end0-bluestein_single_fwd_len1020_dim1_dp_op_CI_CI
                                        ; -- End function
	.section	.AMDGPU.csdata,"",@progbits
; Kernel info:
; codeLenInByte = 36376
; NumSgprs: 66
; NumVgprs: 256
; ScratchSize: 936
; MemoryBound: 0
; FloatMode: 240
; IeeeMode: 1
; LDSByteSize: 48960 bytes/workgroup (compile time only)
; SGPRBlocks: 8
; VGPRBlocks: 31
; NumSGPRsForWavesPerEU: 66
; NumVGPRsForWavesPerEU: 256
; Occupancy: 4
; WaveLimiterHint : 1
; COMPUTE_PGM_RSRC2:SCRATCH_EN: 1
; COMPUTE_PGM_RSRC2:USER_SGPR: 6
; COMPUTE_PGM_RSRC2:TRAP_HANDLER: 0
; COMPUTE_PGM_RSRC2:TGID_X_EN: 1
; COMPUTE_PGM_RSRC2:TGID_Y_EN: 0
; COMPUTE_PGM_RSRC2:TGID_Z_EN: 0
; COMPUTE_PGM_RSRC2:TIDIG_COMP_CNT: 0
	.text
	.p2alignl 6, 3214868480
	.fill 48, 4, 3214868480
	.type	__hip_cuid_384eb9e72c5de57e,@object ; @__hip_cuid_384eb9e72c5de57e
	.section	.bss,"aw",@nobits
	.globl	__hip_cuid_384eb9e72c5de57e
__hip_cuid_384eb9e72c5de57e:
	.byte	0                               ; 0x0
	.size	__hip_cuid_384eb9e72c5de57e, 1

	.ident	"AMD clang version 19.0.0git (https://github.com/RadeonOpenCompute/llvm-project roc-6.4.0 25133 c7fe45cf4b819c5991fe208aaa96edf142730f1d)"
	.section	".note.GNU-stack","",@progbits
	.addrsig
	.addrsig_sym __hip_cuid_384eb9e72c5de57e
	.amdgpu_metadata
---
amdhsa.kernels:
  - .args:
      - .actual_access:  read_only
        .address_space:  global
        .offset:         0
        .size:           8
        .value_kind:     global_buffer
      - .actual_access:  read_only
        .address_space:  global
        .offset:         8
        .size:           8
        .value_kind:     global_buffer
      - .actual_access:  read_only
        .address_space:  global
        .offset:         16
        .size:           8
        .value_kind:     global_buffer
      - .actual_access:  read_only
        .address_space:  global
        .offset:         24
        .size:           8
        .value_kind:     global_buffer
      - .actual_access:  read_only
        .address_space:  global
        .offset:         32
        .size:           8
        .value_kind:     global_buffer
      - .offset:         40
        .size:           8
        .value_kind:     by_value
      - .address_space:  global
        .offset:         48
        .size:           8
        .value_kind:     global_buffer
      - .address_space:  global
        .offset:         56
        .size:           8
        .value_kind:     global_buffer
      - .address_space:  global
        .offset:         64
        .size:           8
        .value_kind:     global_buffer
      - .address_space:  global
        .offset:         72
        .size:           8
        .value_kind:     global_buffer
      - .offset:         80
        .size:           4
        .value_kind:     by_value
      - .address_space:  global
        .offset:         88
        .size:           8
        .value_kind:     global_buffer
      - .address_space:  global
        .offset:         96
        .size:           8
        .value_kind:     global_buffer
    .group_segment_fixed_size: 48960
    .kernarg_segment_align: 8
    .kernarg_segment_size: 104
    .language:       OpenCL C
    .language_version:
      - 2
      - 0
    .max_flat_workgroup_size: 204
    .name:           bluestein_single_fwd_len1020_dim1_dp_op_CI_CI
    .private_segment_fixed_size: 936
    .sgpr_count:     66
    .sgpr_spill_count: 0
    .symbol:         bluestein_single_fwd_len1020_dim1_dp_op_CI_CI.kd
    .uniform_work_group_size: 1
    .uses_dynamic_stack: false
    .vgpr_count:     256
    .vgpr_spill_count: 333
    .wavefront_size: 32
    .workgroup_processor_mode: 1
amdhsa.target:   amdgcn-amd-amdhsa--gfx1030
amdhsa.version:
  - 1
  - 2
...

	.end_amdgpu_metadata
